;; amdgpu-corpus repo=ROCm/rocFFT kind=compiled arch=gfx906 opt=O3
	.text
	.amdgcn_target "amdgcn-amd-amdhsa--gfx906"
	.amdhsa_code_object_version 6
	.protected	fft_rtc_back_len1020_factors_2_17_2_3_5_wgs_204_tpt_68_halfLds_half_op_CI_CI_unitstride_sbrr_R2C_dirReg ; -- Begin function fft_rtc_back_len1020_factors_2_17_2_3_5_wgs_204_tpt_68_halfLds_half_op_CI_CI_unitstride_sbrr_R2C_dirReg
	.globl	fft_rtc_back_len1020_factors_2_17_2_3_5_wgs_204_tpt_68_halfLds_half_op_CI_CI_unitstride_sbrr_R2C_dirReg
	.p2align	8
	.type	fft_rtc_back_len1020_factors_2_17_2_3_5_wgs_204_tpt_68_halfLds_half_op_CI_CI_unitstride_sbrr_R2C_dirReg,@function
fft_rtc_back_len1020_factors_2_17_2_3_5_wgs_204_tpt_68_halfLds_half_op_CI_CI_unitstride_sbrr_R2C_dirReg: ; @fft_rtc_back_len1020_factors_2_17_2_3_5_wgs_204_tpt_68_halfLds_half_op_CI_CI_unitstride_sbrr_R2C_dirReg
; %bb.0:
	s_load_dwordx4 s[8:11], s[4:5], 0x58
	s_load_dwordx4 s[12:15], s[4:5], 0x0
	;; [unrolled: 1-line block ×3, first 2 shown]
	v_mul_u32_u24_e32 v1, 0x3c4, v0
	v_lshrrev_b32_e32 v1, 16, v1
	v_mad_u64_u32 v[3:4], s[0:1], s6, 3, v[1:2]
	v_mov_b32_e32 v7, 0
	v_mov_b32_e32 v4, v7
	s_waitcnt lgkmcnt(0)
	v_cmp_lt_u64_e64 s[0:1], s[14:15], 2
	v_mov_b32_e32 v18, 0
	v_mov_b32_e32 v19, 0
	;; [unrolled: 1-line block ×4, first 2 shown]
	s_and_b64 vcc, exec, s[0:1]
	v_mov_b32_e32 v2, v19
	v_mov_b32_e32 v5, v3
	s_cbranch_vccnz .LBB0_8
; %bb.1:
	s_load_dwordx2 s[0:1], s[4:5], 0x10
	s_add_u32 s2, s18, 8
	s_addc_u32 s3, s19, 0
	s_add_u32 s6, s16, 8
	s_addc_u32 s7, s17, 0
	v_mov_b32_e32 v18, 0
	s_waitcnt lgkmcnt(0)
	s_add_u32 s20, s0, 8
	v_mov_b32_e32 v19, 0
	v_mov_b32_e32 v1, v18
	;; [unrolled: 1-line block ×3, first 2 shown]
	s_addc_u32 s21, s1, 0
	s_mov_b64 s[22:23], 1
	v_mov_b32_e32 v2, v19
	v_mov_b32_e32 v9, v3
.LBB0_2:                                ; =>This Inner Loop Header: Depth=1
	s_load_dwordx2 s[24:25], s[20:21], 0x0
                                        ; implicit-def: $vgpr5_vgpr6
	s_waitcnt lgkmcnt(0)
	v_or_b32_e32 v8, s25, v10
	v_cmp_ne_u64_e32 vcc, 0, v[7:8]
	s_and_saveexec_b64 s[0:1], vcc
	s_xor_b64 s[26:27], exec, s[0:1]
	s_cbranch_execz .LBB0_4
; %bb.3:                                ;   in Loop: Header=BB0_2 Depth=1
	v_cvt_f32_u32_e32 v4, s24
	v_cvt_f32_u32_e32 v5, s25
	s_sub_u32 s0, 0, s24
	s_subb_u32 s1, 0, s25
	v_mac_f32_e32 v4, 0x4f800000, v5
	v_rcp_f32_e32 v4, v4
	v_mul_f32_e32 v4, 0x5f7ffffc, v4
	v_mul_f32_e32 v5, 0x2f800000, v4
	v_trunc_f32_e32 v5, v5
	v_mac_f32_e32 v4, 0xcf800000, v5
	v_cvt_u32_f32_e32 v5, v5
	v_cvt_u32_f32_e32 v4, v4
	v_mul_lo_u32 v6, s0, v5
	v_mul_hi_u32 v8, s0, v4
	v_mul_lo_u32 v12, s1, v4
	v_mul_lo_u32 v11, s0, v4
	v_add_u32_e32 v6, v8, v6
	v_add_u32_e32 v6, v6, v12
	v_mul_hi_u32 v8, v4, v11
	v_mul_lo_u32 v12, v4, v6
	v_mul_hi_u32 v14, v4, v6
	v_mul_hi_u32 v13, v5, v11
	v_mul_lo_u32 v11, v5, v11
	v_mul_hi_u32 v15, v5, v6
	v_add_co_u32_e32 v8, vcc, v8, v12
	v_addc_co_u32_e32 v12, vcc, 0, v14, vcc
	v_mul_lo_u32 v6, v5, v6
	v_add_co_u32_e32 v8, vcc, v8, v11
	v_addc_co_u32_e32 v8, vcc, v12, v13, vcc
	v_addc_co_u32_e32 v11, vcc, 0, v15, vcc
	v_add_co_u32_e32 v6, vcc, v8, v6
	v_addc_co_u32_e32 v8, vcc, 0, v11, vcc
	v_add_co_u32_e32 v4, vcc, v4, v6
	v_addc_co_u32_e32 v5, vcc, v5, v8, vcc
	v_mul_lo_u32 v6, s0, v5
	v_mul_hi_u32 v8, s0, v4
	v_mul_lo_u32 v11, s1, v4
	v_mul_lo_u32 v12, s0, v4
	v_add_u32_e32 v6, v8, v6
	v_add_u32_e32 v6, v6, v11
	v_mul_lo_u32 v13, v4, v6
	v_mul_hi_u32 v14, v4, v12
	v_mul_hi_u32 v15, v4, v6
	;; [unrolled: 1-line block ×3, first 2 shown]
	v_mul_lo_u32 v12, v5, v12
	v_mul_hi_u32 v8, v5, v6
	v_add_co_u32_e32 v13, vcc, v14, v13
	v_addc_co_u32_e32 v14, vcc, 0, v15, vcc
	v_mul_lo_u32 v6, v5, v6
	v_add_co_u32_e32 v12, vcc, v13, v12
	v_addc_co_u32_e32 v11, vcc, v14, v11, vcc
	v_addc_co_u32_e32 v8, vcc, 0, v8, vcc
	v_add_co_u32_e32 v6, vcc, v11, v6
	v_addc_co_u32_e32 v8, vcc, 0, v8, vcc
	v_add_co_u32_e32 v6, vcc, v4, v6
	v_addc_co_u32_e32 v8, vcc, v5, v8, vcc
	v_mad_u64_u32 v[4:5], s[0:1], v9, v8, 0
	v_mul_hi_u32 v11, v9, v6
	v_add_co_u32_e32 v13, vcc, v11, v4
	v_addc_co_u32_e32 v14, vcc, 0, v5, vcc
	v_mad_u64_u32 v[4:5], s[0:1], v10, v6, 0
	v_mad_u64_u32 v[11:12], s[0:1], v10, v8, 0
	v_add_co_u32_e32 v4, vcc, v13, v4
	v_addc_co_u32_e32 v4, vcc, v14, v5, vcc
	v_addc_co_u32_e32 v5, vcc, 0, v12, vcc
	v_add_co_u32_e32 v8, vcc, v4, v11
	v_addc_co_u32_e32 v6, vcc, 0, v5, vcc
	v_mul_lo_u32 v11, s25, v8
	v_mul_lo_u32 v12, s24, v6
	v_mad_u64_u32 v[4:5], s[0:1], s24, v8, 0
	v_add3_u32 v5, v5, v12, v11
	v_sub_u32_e32 v11, v10, v5
	v_mov_b32_e32 v12, s25
	v_sub_co_u32_e32 v4, vcc, v9, v4
	v_subb_co_u32_e64 v11, s[0:1], v11, v12, vcc
	v_subrev_co_u32_e64 v12, s[0:1], s24, v4
	v_subbrev_co_u32_e64 v11, s[0:1], 0, v11, s[0:1]
	v_cmp_le_u32_e64 s[0:1], s25, v11
	v_cndmask_b32_e64 v13, 0, -1, s[0:1]
	v_cmp_le_u32_e64 s[0:1], s24, v12
	v_cndmask_b32_e64 v12, 0, -1, s[0:1]
	v_cmp_eq_u32_e64 s[0:1], s25, v11
	v_cndmask_b32_e64 v11, v13, v12, s[0:1]
	v_add_co_u32_e64 v12, s[0:1], 2, v8
	v_addc_co_u32_e64 v13, s[0:1], 0, v6, s[0:1]
	v_add_co_u32_e64 v14, s[0:1], 1, v8
	v_addc_co_u32_e64 v15, s[0:1], 0, v6, s[0:1]
	v_subb_co_u32_e32 v5, vcc, v10, v5, vcc
	v_cmp_ne_u32_e64 s[0:1], 0, v11
	v_cmp_le_u32_e32 vcc, s25, v5
	v_cndmask_b32_e64 v11, v15, v13, s[0:1]
	v_cndmask_b32_e64 v13, 0, -1, vcc
	v_cmp_le_u32_e32 vcc, s24, v4
	v_cndmask_b32_e64 v4, 0, -1, vcc
	v_cmp_eq_u32_e32 vcc, s25, v5
	v_cndmask_b32_e32 v4, v13, v4, vcc
	v_cmp_ne_u32_e32 vcc, 0, v4
	v_cndmask_b32_e64 v4, v14, v12, s[0:1]
	v_cndmask_b32_e32 v6, v6, v11, vcc
	v_cndmask_b32_e32 v5, v8, v4, vcc
.LBB0_4:                                ;   in Loop: Header=BB0_2 Depth=1
	s_andn2_saveexec_b64 s[0:1], s[26:27]
	s_cbranch_execz .LBB0_6
; %bb.5:                                ;   in Loop: Header=BB0_2 Depth=1
	v_cvt_f32_u32_e32 v4, s24
	s_sub_i32 s26, 0, s24
	v_rcp_iflag_f32_e32 v4, v4
	v_mul_f32_e32 v4, 0x4f7ffffe, v4
	v_cvt_u32_f32_e32 v4, v4
	v_mul_lo_u32 v5, s26, v4
	v_mul_hi_u32 v5, v4, v5
	v_add_u32_e32 v4, v4, v5
	v_mul_hi_u32 v4, v9, v4
	v_mul_lo_u32 v5, v4, s24
	v_add_u32_e32 v6, 1, v4
	v_sub_u32_e32 v5, v9, v5
	v_subrev_u32_e32 v8, s24, v5
	v_cmp_le_u32_e32 vcc, s24, v5
	v_cndmask_b32_e32 v5, v5, v8, vcc
	v_cndmask_b32_e32 v4, v4, v6, vcc
	v_add_u32_e32 v6, 1, v4
	v_cmp_le_u32_e32 vcc, s24, v5
	v_cndmask_b32_e32 v5, v4, v6, vcc
	v_mov_b32_e32 v6, v7
.LBB0_6:                                ;   in Loop: Header=BB0_2 Depth=1
	s_or_b64 exec, exec, s[0:1]
	v_mul_lo_u32 v4, v6, s24
	v_mul_lo_u32 v8, v5, s25
	v_mad_u64_u32 v[11:12], s[0:1], v5, s24, 0
	s_load_dwordx2 s[0:1], s[6:7], 0x0
	s_load_dwordx2 s[24:25], s[2:3], 0x0
	v_add3_u32 v4, v12, v8, v4
	v_sub_co_u32_e32 v8, vcc, v9, v11
	v_subb_co_u32_e32 v4, vcc, v10, v4, vcc
	s_waitcnt lgkmcnt(0)
	v_mul_lo_u32 v9, s0, v4
	v_mul_lo_u32 v10, s1, v8
	v_mad_u64_u32 v[18:19], s[0:1], s0, v8, v[18:19]
	s_add_u32 s22, s22, 1
	s_addc_u32 s23, s23, 0
	s_add_u32 s2, s2, 8
	v_mul_lo_u32 v4, s24, v4
	v_mul_lo_u32 v11, s25, v8
	v_mad_u64_u32 v[1:2], s[0:1], s24, v8, v[1:2]
	v_add3_u32 v19, v10, v19, v9
	s_addc_u32 s3, s3, 0
	v_mov_b32_e32 v8, s14
	s_add_u32 s6, s6, 8
	v_mov_b32_e32 v9, s15
	s_addc_u32 s7, s7, 0
	v_cmp_ge_u64_e32 vcc, s[22:23], v[8:9]
	s_add_u32 s20, s20, 8
	v_add3_u32 v2, v11, v2, v4
	s_addc_u32 s21, s21, 0
	s_cbranch_vccnz .LBB0_8
; %bb.7:                                ;   in Loop: Header=BB0_2 Depth=1
	v_mov_b32_e32 v10, v6
	v_mov_b32_e32 v9, v5
	s_branch .LBB0_2
.LBB0_8:
	s_mov_b32 s2, 0xaaaaaaab
	s_load_dwordx2 s[0:1], s[4:5], 0x28
	v_mul_hi_u32 v4, v3, s2
	s_lshl_b64 s[6:7], s[14:15], 3
	s_add_u32 s2, s18, s6
	s_addc_u32 s3, s19, s7
	v_lshrrev_b32_e32 v4, 1, v4
	v_lshl_add_u32 v4, v4, 1, v4
	s_waitcnt lgkmcnt(0)
	v_cmp_gt_u64_e32 vcc, s[0:1], v[5:6]
	v_cmp_le_u64_e64 s[0:1], s[0:1], v[5:6]
	v_sub_u32_e32 v4, v3, v4
                                        ; implicit-def: $vgpr3
                                        ; implicit-def: $vgpr7
                                        ; implicit-def: $vgpr17
                                        ; implicit-def: $vgpr16
                                        ; implicit-def: $vgpr14
                                        ; implicit-def: $vgpr12
                                        ; implicit-def: $vgpr10
                                        ; implicit-def: $vgpr9
	s_and_saveexec_b64 s[4:5], s[0:1]
	s_xor_b64 s[0:1], exec, s[4:5]
; %bb.9:
	s_mov_b32 s4, 0x3c3c3c4
	v_mul_hi_u32 v3, v0, s4
                                        ; implicit-def: $vgpr18_vgpr19
	v_mul_u32_u24_e32 v3, 0x44, v3
	v_sub_u32_e32 v3, v0, v3
	v_add_u32_e32 v7, 0x44, v3
	v_add_u32_e32 v17, 0x88, v3
	;; [unrolled: 1-line block ×7, first 2 shown]
                                        ; implicit-def: $vgpr0
; %bb.10:
	s_or_saveexec_b64 s[4:5], s[0:1]
	v_mul_u32_u24_e32 v4, 0x3fd, v4
	v_lshlrev_b32_e32 v8, 2, v4
	s_xor_b64 exec, exec, s[4:5]
	s_cbranch_execz .LBB0_12
; %bb.11:
	s_add_u32 s0, s16, s6
	s_addc_u32 s1, s17, s7
	s_load_dwordx2 s[0:1], s[0:1], 0x0
	s_mov_b32 s6, 0x3c3c3c4
	v_mul_hi_u32 v3, v0, s6
	s_waitcnt lgkmcnt(0)
	v_mul_lo_u32 v4, s1, v5
	v_mul_lo_u32 v7, s0, v6
	v_mad_u64_u32 v[9:10], s[0:1], s0, v5, 0
	v_mul_u32_u24_e32 v3, 0x44, v3
	v_sub_u32_e32 v3, v0, v3
	v_add3_u32 v10, v10, v7, v4
	v_lshlrev_b64 v[9:10], 2, v[9:10]
	v_mov_b32_e32 v0, s9
	v_add_co_u32_e64 v4, s[0:1], s8, v9
	v_addc_co_u32_e64 v0, s[0:1], v0, v10, s[0:1]
	v_lshlrev_b64 v[9:10], 2, v[18:19]
	v_lshlrev_b32_e32 v11, 2, v3
	v_add_co_u32_e64 v4, s[0:1], v4, v9
	v_addc_co_u32_e64 v0, s[0:1], v0, v10, s[0:1]
	v_add_co_u32_e64 v9, s[0:1], v4, v11
	v_addc_co_u32_e64 v10, s[0:1], 0, v0, s[0:1]
	global_load_dword v0, v[9:10], off
	global_load_dword v4, v[9:10], off offset:272
	global_load_dword v13, v[9:10], off offset:544
	;; [unrolled: 1-line block ×14, first 2 shown]
	v_add3_u32 v9, 0, v8, v11
	v_add_u32_e32 v7, 0x44, v3
	v_add_u32_e32 v17, 0x88, v3
	;; [unrolled: 1-line block ×9, first 2 shown]
	s_waitcnt vmcnt(13)
	ds_write2_b32 v9, v0, v4 offset1:68
	s_waitcnt vmcnt(11)
	ds_write2_b32 v9, v13, v15 offset0:136 offset1:204
	s_waitcnt vmcnt(9)
	ds_write2_b32 v11, v18, v19 offset0:16 offset1:84
	;; [unrolled: 2-line block ×6, first 2 shown]
	s_waitcnt vmcnt(0)
	ds_write_b32 v9, v28 offset:3808
	v_add_u32_e32 v9, 0x1dc, v3
.LBB0_12:
	s_or_b64 exec, exec, s[4:5]
	v_lshlrev_b32_e32 v18, 2, v3
	v_add3_u32 v4, 0, v18, v8
	v_add_u32_e32 v0, 0x800, v4
	s_load_dwordx2 s[4:5], s[2:3], 0x0
	s_waitcnt lgkmcnt(0)
	s_barrier
	ds_read2_b32 v[20:21], v0 offset0:66 offset1:134
	ds_read2_b32 v[25:26], v4 offset0:68 offset1:136
	v_add_u32_e32 v0, 0, v8
	v_add_u32_e32 v13, 0x400, v4
	;; [unrolled: 1-line block ×3, first 2 shown]
	v_cmp_gt_u32_e64 s[0:1], 34, v3
	s_waitcnt lgkmcnt(0)
	v_pk_add_f16 v19, v26, v21 neg_lo:[0,1] neg_hi:[0,1]
	ds_read2_b32 v[27:28], v13 offset0:220 offset1:254
	ds_read_b32 v15, v11
	ds_read_b32 v21, v4 offset:3944
	ds_read2_b32 v[29:30], v13 offset0:84 offset1:152
	v_add_u32_e32 v13, 0xc00, v4
	ds_read2_b32 v[31:32], v13 offset0:82 offset1:150
	v_add_u32_e32 v13, 0x200, v4
	;; [unrolled: 2-line block ×3, first 2 shown]
	ds_read2_b32 v[37:38], v13 offset0:74 offset1:142
	v_pk_add_f16 v23, v25, v20 neg_lo:[0,1] neg_hi:[0,1]
	v_pk_fma_f16 v24, v26, 2.0, v19 op_sel_hi:[1,0,1] neg_lo:[0,0,1] neg_hi:[0,0,1]
	v_pk_fma_f16 v26, v25, 2.0, v23 op_sel_hi:[1,0,1] neg_lo:[0,0,1] neg_hi:[0,0,1]
	s_waitcnt lgkmcnt(5)
	v_pk_add_f16 v25, v15, v28 neg_lo:[0,1] neg_hi:[0,1]
	v_pk_fma_f16 v13, v15, 2.0, v25 op_sel_hi:[1,0,1] neg_lo:[0,0,1] neg_hi:[0,0,1]
	v_lshl_add_u32 v15, v3, 3, v0
	s_waitcnt lgkmcnt(2)
	v_pk_add_f16 v31, v29, v31 neg_lo:[0,1] neg_hi:[0,1]
	s_waitcnt lgkmcnt(0)
	s_barrier
	ds_write2_b32 v15, v13, v25 offset1:1
	v_lshl_add_u32 v15, v7, 3, v0
	v_pk_add_f16 v21, v27, v21 neg_lo:[0,1] neg_hi:[0,1]
	v_pk_fma_f16 v34, v29, 2.0, v31 op_sel_hi:[1,0,1] neg_lo:[0,0,1] neg_hi:[0,0,1]
	v_pk_add_f16 v29, v35, v37 neg_lo:[0,1] neg_hi:[0,1]
	ds_write2_b32 v15, v26, v23 offset1:1
	v_lshl_add_u32 v15, v17, 3, v0
	v_pk_fma_f16 v28, v27, 2.0, v21 op_sel_hi:[1,0,1] neg_lo:[0,0,1] neg_hi:[0,0,1]
	v_pk_add_f16 v27, v30, v32 neg_lo:[0,1] neg_hi:[0,1]
	v_pk_add_f16 v33, v36, v38 neg_lo:[0,1] neg_hi:[0,1]
	v_pk_fma_f16 v20, v35, 2.0, v29 op_sel_hi:[1,0,1] neg_lo:[0,0,1] neg_hi:[0,0,1]
	ds_write2_b32 v15, v24, v19 offset1:1
	v_lshl_add_u32 v15, v16, 3, v0
	v_pk_fma_f16 v32, v30, 2.0, v27 op_sel_hi:[1,0,1] neg_lo:[0,0,1] neg_hi:[0,0,1]
	v_pk_fma_f16 v30, v36, 2.0, v33 op_sel_hi:[1,0,1] neg_lo:[0,0,1] neg_hi:[0,0,1]
	ds_write2_b32 v15, v20, v29 offset1:1
	v_lshl_add_u32 v15, v14, 3, v0
	ds_write2_b32 v15, v30, v33 offset1:1
	v_lshl_add_u32 v15, v12, 3, v0
	;; [unrolled: 2-line block ×3, first 2 shown]
	ds_write2_b32 v15, v32, v27 offset1:1
	s_and_saveexec_b64 s[2:3], s[0:1]
	s_cbranch_execz .LBB0_14
; %bb.13:
	v_lshlrev_b32_e32 v15, 3, v9
	v_add3_u32 v15, 0, v15, v8
	ds_write2_b32 v15, v28, v21 offset1:1
.LBB0_14:
	s_or_b64 exec, exec, s[2:3]
	v_cmp_gt_u32_e64 s[2:3], 60, v3
	v_lshrrev_b32_e32 v35, 16, v25
	v_lshrrev_b32_e32 v36, 16, v20
	;; [unrolled: 1-line block ×6, first 2 shown]
	s_waitcnt lgkmcnt(0)
	s_barrier
	s_waitcnt lgkmcnt(0)
                                        ; implicit-def: $vgpr56
	s_and_saveexec_b64 s[6:7], s[2:3]
	s_cbranch_execz .LBB0_16
; %bb.15:
	v_add_u32_e32 v15, 0x400, v4
	ds_read_b32 v13, v11
	ds_read2_b32 v[25:26], v4 offset0:60 offset1:120
	ds_read2_b32 v[23:24], v4 offset0:180 offset1:240
	ds_read2_b32 v[19:20], v15 offset0:44 offset1:104
	ds_read2_b32 v[29:30], v15 offset0:164 offset1:224
	v_add_u32_e32 v15, 0xc00, v4
	v_add_u32_e32 v27, 0x800, v4
	ds_read2_b32 v[21:22], v15 offset0:132 offset1:192
	ds_read2_b32 v[33:34], v27 offset0:28 offset1:88
	;; [unrolled: 1-line block ×4, first 2 shown]
	s_waitcnt lgkmcnt(7)
	v_lshrrev_b32_e32 v35, 16, v25
	v_lshrrev_b32_e32 v38, 16, v26
	s_waitcnt lgkmcnt(6)
	v_lshrrev_b32_e32 v40, 16, v23
	s_waitcnt lgkmcnt(3)
	v_lshrrev_b32_e32 v56, 16, v22
	v_lshrrev_b32_e32 v37, 16, v24
	;; [unrolled: 1-line block ×4, first 2 shown]
.LBB0_16:
	s_or_b64 exec, exec, s[6:7]
	v_and_b32_e32 v15, 1, v3
	v_lshlrev_b32_e32 v41, 6, v15
	global_load_dwordx4 v[45:48], v41, s[12:13]
	global_load_dwordx4 v[49:52], v41, s[12:13] offset:16
	global_load_dwordx4 v[57:60], v41, s[12:13] offset:32
	;; [unrolled: 1-line block ×3, first 2 shown]
	v_lshrrev_b32_e32 v53, 16, v29
	s_waitcnt lgkmcnt(2)
	v_lshrrev_b32_e32 v55, 16, v33
	v_lshrrev_b32_e32 v65, 16, v34
	;; [unrolled: 1-line block ×3, first 2 shown]
	s_waitcnt lgkmcnt(0)
	v_lshrrev_b32_e32 v69, 16, v28
	v_lshrrev_b32_e32 v54, 16, v30
	;; [unrolled: 1-line block ×4, first 2 shown]
	s_movk_i32 s8, 0x39e9
	s_movk_i32 s9, 0x2de8
	s_mov_b32 s16, 0xb964
	s_mov_b32 s17, 0xbbf7
	s_movk_i32 s15, 0x3722
	s_mov_b32 s14, 0xb8d2
	v_lshrrev_b32_e32 v68, 16, v27
	s_mov_b32 s20, 0xbb29
	s_mov_b32 s19, 0xba62
	;; [unrolled: 1-line block ×3, first 2 shown]
	s_movk_i32 s25, 0x31e1
	s_mov_b32 s22, 0xb1e1
	s_mov_b32 s21, 0xb461
	s_movk_i32 s27, 0x3bb2
	s_mov_b32 s23, 0xbacd
	s_movk_i32 s28, 0x3836
	s_movk_i32 s30, 0x3964
	;; [unrolled: 1-line block ×3, first 2 shown]
	s_mov_b32 s26, 0xb5c8
	s_movk_i32 s31, 0x3b29
	s_movk_i32 s33, 0x35c8
	s_mov_b32 s29, 0xb836
	s_waitcnt vmcnt(0)
	s_barrier
	v_mul_f16_sdwa v41, v35, v45 dst_sel:DWORD dst_unused:UNUSED_PAD src0_sel:DWORD src1_sel:WORD_1
	v_mul_f16_sdwa v71, v25, v45 dst_sel:DWORD dst_unused:UNUSED_PAD src0_sel:DWORD src1_sel:WORD_1
	;; [unrolled: 1-line block ×22, first 2 shown]
	v_fma_f16 v41, v25, v45, v41
	v_fma_f16 v42, v26, v46, v42
	;; [unrolled: 1-line block ×4, first 2 shown]
	v_fma_f16 v23, v35, v45, -v71
	v_fma_f16 v24, v38, v46, -v72
	;; [unrolled: 1-line block ×3, first 2 shown]
	v_fma_f16 v45, v19, v49, v75
	v_fma_f16 v46, v20, v50, v77
	v_fma_f16 v35, v39, v49, -v76
	v_fma_f16 v47, v29, v51, v79
	v_fma_f16 v29, v36, v50, -v78
	v_fma_f16 v49, v33, v57, v83
	v_fma_f16 v50, v34, v58, v85
	v_fma_f16 v34, v55, v57, -v84
	v_fma_f16 v57, v22, v64, v97
	v_fma_f16 v22, v56, v64, -v98
	v_mul_f16_sdwa v82, v30, v52 dst_sel:DWORD dst_unused:UNUSED_PAD src0_sel:DWORD src1_sel:WORD_1
	v_mul_f16_sdwa v93, v69, v62 dst_sel:DWORD dst_unused:UNUSED_PAD src0_sel:DWORD src1_sel:WORD_1
	;; [unrolled: 1-line block ×3, first 2 shown]
	v_fma_f16 v55, v21, v63, v95
	v_fma_f16 v40, v70, v63, -v96
	v_sub_f16_e32 v63, v23, v22
	v_mul_f16_sdwa v81, v54, v52 dst_sel:DWORD dst_unused:UNUSED_PAD src0_sel:DWORD src1_sel:WORD_1
	v_mul_f16_sdwa v90, v32, v60 dst_sel:DWORD dst_unused:UNUSED_PAD src0_sel:DWORD src1_sel:WORD_1
	v_fma_f16 v36, v54, v52, -v82
	v_fma_f16 v54, v28, v62, v93
	v_fma_f16 v28, v69, v62, -v94
	v_add_f16_e32 v20, v41, v57
	v_sub_f16_e32 v62, v24, v40
	v_mul_f16_e32 v71, 0xb964, v63
	v_mul_f16_sdwa v87, v66, v59 dst_sel:DWORD dst_unused:UNUSED_PAD src0_sel:DWORD src1_sel:WORD_1
	v_mul_f16_sdwa v88, v67, v60 dst_sel:DWORD dst_unused:UNUSED_PAD src0_sel:DWORD src1_sel:WORD_1
	v_fma_f16 v39, v67, v60, -v90
	v_add_f16_e32 v21, v42, v55
	v_fma_f16 v19, v20, s8, -v71
	v_mul_f16_e32 v72, 0xbbf7, v62
	v_add_f16_e32 v67, v23, v22
	v_mul_f16_sdwa v89, v31, v59 dst_sel:DWORD dst_unused:UNUSED_PAD src0_sel:DWORD src1_sel:WORD_1
	v_fma_f16 v26, v37, v48, -v74
	v_fma_f16 v48, v30, v52, v81
	v_fma_f16 v30, v53, v51, -v80
	v_fma_f16 v51, v31, v59, v87
	v_add_f16_e32 v19, v13, v19
	v_fma_f16 v31, v21, s9, -v72
	v_sub_f16_e32 v56, v41, v57
	v_mul_f16_e32 v82, 0x39e9, v67
	v_add_f16_e32 v69, v24, v40
	v_fma_f16 v37, v65, v58, -v86
	v_add_f16_e32 v19, v31, v19
	v_fma_f16 v31, v56, s16, v82
	v_sub_f16_e32 v58, v42, v55
	v_mul_f16_e32 v83, 0x2de8, v69
	v_fma_f16 v52, v32, v60, v88
	v_add_f16_sdwa v31, v13, v31 dst_sel:DWORD dst_unused:UNUSED_PAD src0_sel:WORD_1 src1_sel:DWORD
	v_fma_f16 v32, v58, s17, v83
	v_mul_f16_e32 v94, 0xbb29, v63
	v_add_f16_e32 v31, v32, v31
	v_fma_f16 v32, v20, s15, -v94
	v_mul_f16_e32 v95, 0xba62, v62
	v_add_f16_e32 v32, v13, v32
	v_fma_f16 v33, v21, s14, -v95
	v_mul_f16_e32 v105, 0x3722, v67
	v_mul_f16_sdwa v91, v68, v61 dst_sel:DWORD dst_unused:UNUSED_PAD src0_sel:DWORD src1_sel:WORD_1
	v_mul_f16_sdwa v92, v27, v61 dst_sel:DWORD dst_unused:UNUSED_PAD src0_sel:DWORD src1_sel:WORD_1
	v_add_f16_e32 v32, v33, v32
	v_fma_f16 v33, v56, s20, v105
	v_mul_f16_e32 v106, 0xb8d2, v69
	v_fma_f16 v38, v66, v59, -v89
	v_fma_f16 v53, v27, v61, v91
	v_fma_f16 v27, v68, v61, -v92
	v_add_f16_sdwa v33, v13, v33 dst_sel:DWORD dst_unused:UNUSED_PAD src0_sel:WORD_1 src1_sel:DWORD
	v_fma_f16 v59, v58, s19, v106
	v_sub_f16_e32 v68, v25, v28
	v_add_f16_e32 v33, v59, v33
	v_add_f16_e32 v59, v43, v54
	v_mul_f16_e32 v78, 0xba62, v68
	v_add_f16_e32 v76, v25, v28
	v_fma_f16 v60, v59, s14, -v78
	v_sub_f16_e32 v61, v43, v54
	v_mul_f16_e32 v87, 0xb8d2, v76
	v_add_f16_e32 v19, v60, v19
	v_fma_f16 v60, v61, s19, v87
	v_mul_f16_e32 v100, 0x31e1, v68
	v_add_f16_e32 v31, v60, v31
	v_fma_f16 v60, v59, s18, -v100
	v_mul_f16_e32 v111, 0xbbdd, v76
	v_add_f16_e32 v32, v60, v32
	v_fma_f16 v60, v61, s25, v111
	v_sub_f16_e32 v74, v26, v27
	v_add_f16_e32 v33, v60, v33
	v_add_f16_e32 v60, v44, v53
	v_mul_f16_e32 v85, 0xb1e1, v74
	v_fma_f16 v64, v60, s18, -v85
	v_add_f16_e32 v81, v26, v27
	v_add_f16_e32 v19, v64, v19
	v_sub_f16_e32 v64, v44, v53
	v_mul_f16_e32 v92, 0xbbdd, v81
	v_fma_f16 v65, v64, s22, v92
	v_mul_f16_e32 v107, 0x3bb2, v74
	v_add_f16_e32 v31, v65, v31
	v_fma_f16 v65, v60, s21, -v107
	v_mul_f16_e32 v115, 0xb461, v81
	v_add_f16_e32 v32, v65, v32
	v_fma_f16 v65, v64, s27, v115
	v_sub_f16_e32 v80, v35, v39
	v_add_f16_e32 v33, v65, v33
	v_add_f16_e32 v65, v45, v52
	v_mul_f16_e32 v90, 0x3836, v80
	v_add_f16_e32 v88, v35, v39
	v_fma_f16 v66, v65, s23, -v90
	v_sub_f16_e32 v70, v45, v52
	v_mul_f16_e32 v99, 0xbacd, v88
	v_add_f16_e32 v19, v66, v19
	v_fma_f16 v66, v70, s28, v99
	v_mul_f16_e32 v112, 0x3964, v80
	v_add_f16_e32 v31, v66, v31
	v_fma_f16 v66, v65, s8, -v112
	v_mul_f16_e32 v119, 0x39e9, v88
	v_add_f16_e32 v32, v66, v32
	v_fma_f16 v66, v70, s30, v119
	v_sub_f16_e32 v86, v29, v38
	v_add_f16_e32 v33, v66, v33
	v_add_f16_e32 v66, v46, v51
	v_mul_f16_e32 v97, 0x3bb2, v86
	v_add_f16_e32 v91, v29, v38
	v_fma_f16 v73, v66, s21, -v97
	v_sub_f16_e32 v75, v46, v51
	v_mul_f16_e32 v104, 0xb461, v91
	v_add_f16_e32 v19, v73, v19
	;; [unrolled: 16-line block ×3, first 2 shown]
	v_fma_f16 v77, v79, s31, v110
	v_mul_f16_e32 v118, 0xbbf7, v89
	v_add_f16_e32 v31, v77, v31
	v_fma_f16 v77, v73, s9, -v118
	v_mul_f16_e32 v123, 0x2de8, v98
	v_sub_f16_e32 v96, v36, v34
	v_add_f16_e32 v93, v77, v32
	v_fma_f16 v32, v79, s17, v123
	v_add_f16_e32 v77, v48, v49
	v_mul_f16_e32 v109, 0x35c8, v96
	v_add_f16_e32 v103, v36, v34
	v_add_f16_e32 v33, v32, v33
	v_fma_f16 v32, v77, s24, -v109
	v_sub_f16_e32 v84, v48, v49
	v_mul_f16_e32 v114, 0x3b76, v103
	v_add_f16_e32 v19, v32, v19
	v_fma_f16 v32, v84, s33, v114
	v_mul_f16_e32 v120, 0xb836, v96
	v_add_f16_e32 v32, v32, v31
	v_fma_f16 v31, v77, s23, -v120
	v_mul_f16_e32 v124, 0xbacd, v103
	v_add_f16_e32 v31, v31, v93
	v_fma_f16 v93, v84, s29, v124
	v_add_f16_e32 v33, v93, v33
	s_and_saveexec_b64 s[6:7], s[2:3]
	s_cbranch_execz .LBB0_18
; %bb.17:
	v_mul_f16_e32 v125, 0xbbf7, v56
	v_fma_f16 v93, v67, s9, v125
	v_mul_f16_e32 v126, 0xb1e1, v58
	v_add_f16_sdwa v93, v13, v93 dst_sel:DWORD dst_unused:UNUSED_PAD src0_sel:WORD_1 src1_sel:DWORD
	v_fma_f16 v101, v69, s18, v126
	v_mul_f16_e32 v127, 0x3bb2, v61
	v_add_f16_e32 v93, v101, v93
	v_fma_f16 v101, v76, s21, v127
	v_mul_f16_e32 v128, 0x35c8, v64
	v_add_f16_e32 v93, v101, v93
	;; [unrolled: 3-line block ×7, first 2 shown]
	v_fma_f16 v101, v20, s9, -v133
	v_mul_f16_e32 v134, 0xb1e1, v62
	v_add_f16_e32 v101, v13, v101
	v_fma_f16 v108, v21, s18, -v134
	v_mul_f16_e32 v135, 0x3bb2, v68
	v_add_f16_e32 v101, v108, v101
	;; [unrolled: 3-line block ×8, first 2 shown]
	v_fma_f16 v108, v67, s21, v141
	v_mul_f16_e32 v142, 0x3836, v58
	v_add_f16_sdwa v108, v13, v108 dst_sel:DWORD dst_unused:UNUSED_PAD src0_sel:WORD_1 src1_sel:DWORD
	v_fma_f16 v113, v69, s23, v142
	v_mul_f16_e32 v143, 0x3964, v61
	v_add_f16_e32 v108, v113, v108
	v_fma_f16 v113, v76, s8, v143
	v_mul_f16_e32 v144, 0xbb29, v64
	v_add_f16_e32 v108, v113, v108
	;; [unrolled: 3-line block ×7, first 2 shown]
	v_fma_f16 v113, v20, s21, -v149
	v_mul_f16_e32 v150, 0x3836, v62
	v_add_f16_e32 v113, v13, v113
	v_fma_f16 v117, v21, s23, -v150
	v_mul_f16_e32 v151, 0x3964, v68
	v_add_f16_e32 v113, v117, v113
	;; [unrolled: 3-line block ×8, first 2 shown]
	v_fma_f16 v117, v67, s14, v157
	v_mul_f16_e32 v158, 0x3bb2, v58
	v_add_f16_sdwa v117, v13, v117 dst_sel:DWORD dst_unused:UNUSED_PAD src0_sel:WORD_1 src1_sel:DWORD
	v_fma_f16 v121, v69, s21, v158
	v_mul_f16_e32 v159, 0xb5c8, v61
	v_add_f16_e32 v117, v121, v117
	v_fma_f16 v121, v76, s24, v159
	v_mul_f16_e32 v160, 0xb836, v64
	v_add_f16_e32 v117, v121, v117
	;; [unrolled: 3-line block ×7, first 2 shown]
	v_fma_f16 v121, v20, s14, -v165
	v_mul_f16_e32 v166, 0x3bb2, v62
	v_fma_f16 v125, v67, s9, -v125
	v_add_f16_e32 v121, v13, v121
	v_fma_f16 v167, v21, s21, -v166
	v_add_f16_sdwa v125, v13, v125 dst_sel:DWORD dst_unused:UNUSED_PAD src0_sel:WORD_1 src1_sel:DWORD
	v_fma_f16 v126, v69, s18, -v126
	v_add_f16_e32 v121, v167, v121
	v_mul_f16_e32 v167, 0xb5c8, v68
	v_add_f16_e32 v125, v126, v125
	v_fma_f16 v126, v76, s21, -v127
	v_fma_f16 v168, v59, s24, -v167
	v_add_f16_e32 v125, v126, v125
	v_fma_f16 v126, v81, s24, -v128
	v_add_f16_e32 v121, v168, v121
	v_mul_f16_e32 v168, 0xb836, v74
	v_add_f16_e32 v125, v126, v125
	v_fma_f16 v126, v88, s15, -v129
	v_fma_f16 v169, v60, s23, -v168
	v_add_f16_e32 v125, v126, v125
	;; [unrolled: 7-line block ×3, first 2 shown]
	v_fma_f16 v126, v103, s8, -v132
	v_add_f16_e32 v121, v170, v121
	v_mul_f16_e32 v170, 0xb964, v86
	v_add_f16_e32 v125, v126, v125
	v_fma_f16 v126, v20, s9, v133
	v_fma_f16 v171, v66, s8, -v170
	v_add_f16_e32 v126, v13, v126
	v_fma_f16 v127, v21, s18, v134
	v_add_f16_e32 v121, v171, v121
	v_mul_f16_e32 v171, 0xb1e1, v89
	v_add_f16_e32 v126, v127, v126
	v_fma_f16 v127, v59, s21, v135
	v_fma_f16 v172, v73, s18, -v171
	v_add_f16_e32 v126, v127, v126
	v_fma_f16 v127, v60, s24, v136
	;; [unrolled: 7-line block ×3, first 2 shown]
	v_add_f16_e32 v121, v173, v121
	v_mul_f16_e32 v173, 0xb836, v56
	v_add_f16_e32 v126, v127, v126
	v_fma_f16 v127, v73, s14, v139
	v_fma_f16 v174, v67, s23, v173
	v_mul_f16_e32 v175, 0x3b29, v58
	v_add_f16_e32 v126, v127, v126
	v_fma_f16 v127, v77, s8, v140
	v_add_f16_sdwa v174, v13, v174 dst_sel:DWORD dst_unused:UNUSED_PAD src0_sel:WORD_1 src1_sel:DWORD
	v_fma_f16 v176, v69, s15, v175
	v_add_f16_e32 v126, v127, v126
	v_mul_f16_e32 v127, 0xbb29, v56
	v_add_f16_e32 v174, v176, v174
	v_mul_f16_e32 v176, 0xbbf7, v61
	v_sub_f16_e32 v105, v105, v127
	v_mul_f16_e32 v127, 0xba62, v58
	v_fma_f16 v177, v76, s9, v176
	v_sub_f16_e32 v106, v106, v127
	v_add_f16_sdwa v105, v13, v105 dst_sel:DWORD dst_unused:UNUSED_PAD src0_sel:WORD_1 src1_sel:DWORD
	v_add_f16_e32 v174, v177, v174
	v_mul_f16_e32 v177, 0x3a62, v64
	v_add_f16_e32 v105, v106, v105
	v_mul_f16_e32 v106, 0x31e1, v61
	v_fma_f16 v178, v81, s14, v177
	v_sub_f16_e32 v106, v111, v106
	v_add_f16_e32 v174, v178, v174
	v_mul_f16_e32 v178, 0xb5c8, v70
	v_add_f16_e32 v105, v106, v105
	v_mul_f16_e32 v106, 0x3bb2, v64
	v_fma_f16 v179, v88, s24, v178
	v_sub_f16_e32 v106, v115, v106
	;; [unrolled: 6-line block ×5, first 2 shown]
	v_add_f16_e32 v174, v182, v174
	v_mul_f16_e32 v182, 0xb836, v63
	v_add_f16_e32 v105, v106, v105
	v_mul_f16_e32 v106, 0xb836, v84
	v_fma_f16 v183, v20, s23, -v182
	v_mul_f16_e32 v184, 0x3b29, v62
	v_sub_f16_e32 v106, v124, v106
	v_add_f16_e32 v183, v13, v183
	v_fma_f16 v185, v21, s15, -v184
	v_add_f16_e32 v105, v106, v105
	v_mul_f16_e32 v106, 0x3722, v20
	v_add_f16_e32 v183, v185, v183
	v_mul_f16_e32 v185, 0xbbf7, v68
	;; [unrolled: 2-line block ×3, first 2 shown]
	v_fma_f16 v186, v59, s9, -v185
	v_add_f16_e32 v95, v106, v95
	v_add_f16_e32 v94, v13, v94
	;; [unrolled: 1-line block ×3, first 2 shown]
	v_mul_f16_e32 v186, 0x3a62, v74
	v_add_f16_e32 v94, v95, v94
	v_mul_f16_e32 v95, 0xbbdd, v59
	v_fma_f16 v187, v60, s14, -v186
	v_add_f16_e32 v95, v95, v100
	v_add_f16_e32 v183, v187, v183
	v_mul_f16_e32 v187, 0xb5c8, v80
	v_add_f16_e32 v94, v95, v94
	v_mul_f16_e32 v95, 0xb461, v60
	v_fma_f16 v188, v65, s24, -v187
	v_add_f16_e32 v95, v95, v107
	v_add_f16_e32 v183, v188, v183
	;; [unrolled: 6-line block ×4, first 2 shown]
	v_mul_f16_e32 v190, 0xbbb2, v96
	v_add_f16_e32 v94, v95, v94
	v_mul_f16_e32 v95, 0x2de8, v73
	v_fma_f16 v191, v77, s21, -v190
	v_mul_f16_e32 v100, 0x39e9, v20
	v_add_f16_e32 v95, v95, v118
	v_add_f16_e32 v183, v191, v183
	v_mul_f16_e32 v191, 0xb1e1, v56
	v_mul_f16_e32 v106, 0xb964, v56
	;; [unrolled: 1-line block ×3, first 2 shown]
	v_add_f16_e32 v94, v95, v94
	v_mul_f16_e32 v95, 0xbacd, v77
	v_add_f16_e32 v71, v100, v71
	v_fma_f16 v192, v67, s18, v191
	v_mul_f16_e32 v193, 0x35c8, v58
	v_mul_f16_e32 v111, 0xbbf7, v58
	v_add_f16_e32 v95, v95, v120
	v_mul_f16_e32 v112, 0xb8d2, v59
	v_sub_f16_e32 v82, v82, v106
	v_add_f16_e32 v71, v13, v71
	v_add_f16_e32 v72, v107, v72
	v_add_f16_sdwa v192, v13, v192 dst_sel:DWORD dst_unused:UNUSED_PAD src0_sel:WORD_1 src1_sel:DWORD
	v_fma_f16 v194, v69, s24, v193
	v_add_f16_e32 v94, v95, v94
	v_mul_f16_e32 v95, 0xba62, v61
	v_mul_f16_e32 v106, 0xbbdd, v60
	v_sub_f16_e32 v83, v83, v111
	v_add_f16_sdwa v82, v13, v82 dst_sel:DWORD dst_unused:UNUSED_PAD src0_sel:WORD_1 src1_sel:DWORD
	v_add_f16_e32 v71, v72, v71
	v_add_f16_e32 v72, v112, v78
	;; [unrolled: 1-line block ×3, first 2 shown]
	v_mul_f16_e32 v194, 0xb836, v61
	v_mul_f16_e32 v111, 0xb1e1, v64
	v_add_f16_e32 v82, v83, v82
	v_mul_f16_e32 v83, 0xbacd, v65
	v_sub_f16_e32 v87, v87, v95
	v_add_f16_e32 v71, v72, v71
	v_add_f16_e32 v72, v106, v85
	v_fma_f16 v195, v76, s23, v194
	v_mul_f16_e32 v95, 0x3836, v70
	v_add_f16_e32 v82, v87, v82
	v_mul_f16_e32 v87, 0xb461, v66
	v_sub_f16_e32 v92, v92, v111
	v_add_f16_e32 v71, v72, v71
	v_add_f16_e32 v72, v83, v90
	;; [unrolled: 1-line block ×3, first 2 shown]
	v_mul_f16_e32 v195, 0x3964, v64
	v_add_f16_e32 v82, v92, v82
	v_mul_f16_e32 v92, 0x3722, v73
	v_sub_f16_e32 v95, v99, v95
	v_add_f16_e32 v71, v72, v71
	v_add_f16_e32 v72, v87, v97
	v_fma_f16 v196, v81, s8, v195
	v_add_f16_e32 v82, v95, v82
	v_mul_f16_e32 v95, 0x3b76, v77
	v_add_f16_e32 v71, v72, v71
	v_add_f16_e32 v72, v92, v102
	;; [unrolled: 1-line block ×3, first 2 shown]
	v_mul_f16_e32 v196, 0xba62, v70
	v_fma_f16 v191, v67, s18, -v191
	v_fma_f16 v173, v67, s23, -v173
	;; [unrolled: 1-line block ×4, first 2 shown]
	v_add_f16_e32 v71, v72, v71
	v_add_f16_e32 v72, v95, v109
	v_mul_f16_e32 v67, 0x3b76, v67
	v_add_f16_sdwa v23, v13, v23 dst_sel:DWORD dst_unused:UNUSED_PAD src0_sel:WORD_1 src1_sel:DWORD
	v_fma_f16 v197, v88, s14, v196
	v_add_f16_sdwa v191, v13, v191 dst_sel:DWORD dst_unused:UNUSED_PAD src0_sel:WORD_1 src1_sel:DWORD
	v_fma_f16 v193, v69, s24, -v193
	v_add_f16_sdwa v173, v13, v173 dst_sel:DWORD dst_unused:UNUSED_PAD src0_sel:WORD_1 src1_sel:DWORD
	v_fma_f16 v175, v69, s15, -v175
	;; [unrolled: 2-line block ×4, first 2 shown]
	v_add_f16_e32 v71, v72, v71
	v_fma_f16 v72, v56, s33, v67
	v_mul_f16_e32 v69, 0x39e9, v69
	v_add_f16_e32 v23, v23, v24
	v_add_f16_e32 v192, v197, v192
	v_mul_f16_e32 v197, 0x3b29, v75
	v_add_f16_e32 v191, v193, v191
	v_fma_f16 v193, v76, s23, -v194
	v_add_f16_e32 v173, v175, v173
	v_fma_f16 v175, v76, s9, -v176
	;; [unrolled: 2-line block ×4, first 2 shown]
	v_add_f16_sdwa v72, v13, v72 dst_sel:DWORD dst_unused:UNUSED_PAD src0_sel:WORD_1 src1_sel:DWORD
	v_fma_f16 v78, v58, s30, v69
	v_mul_f16_e32 v76, 0x3722, v76
	v_add_f16_e32 v23, v23, v25
	v_fma_f16 v198, v91, s15, v197
	v_add_f16_e32 v72, v78, v72
	v_fma_f16 v78, v61, s31, v76
	v_add_f16_e32 v23, v23, v26
	v_add_f16_e32 v192, v198, v192
	v_mul_f16_e32 v198, 0xbbb2, v79
	s_movk_i32 s34, 0x3bf7
	v_add_f16_e32 v72, v78, v72
	v_mul_f16_e32 v78, 0x2de8, v81
	v_add_f16_e32 v23, v23, v35
	v_fma_f16 v199, v98, s21, v198
	v_add_f16_e32 v191, v193, v191
	v_fma_f16 v193, v81, s8, -v195
	v_add_f16_e32 v173, v175, v173
	v_fma_f16 v175, v81, s14, -v177
	v_add_f16_e32 v157, v158, v157
	v_fma_f16 v158, v81, s23, -v160
	v_add_f16_e32 v141, v142, v141
	v_fma_f16 v142, v81, s15, -v144
	v_fma_f16 v81, v64, s34, v78
	v_add_f16_e32 v23, v23, v29
	v_add_f16_e32 v192, v199, v192
	v_mul_f16_e32 v199, 0x3bf7, v84
	v_add_f16_e32 v72, v81, v72
	v_mul_f16_e32 v81, 0xb461, v88
	v_add_f16_e32 v23, v23, v30
	v_fma_f16 v200, v103, s9, v199
	v_fma_f16 v83, v70, s27, v81
	v_add_f16_e32 v23, v23, v36
	v_add_f16_e32 v192, v200, v192
	v_mul_f16_e32 v200, 0xb1e1, v63
	s_movk_i32 s2, 0x3a62
	v_add_f16_e32 v72, v83, v72
	v_mul_f16_e32 v83, 0xb8d2, v91
	v_add_f16_e32 v23, v23, v34
	v_fma_f16 v201, v20, s18, -v200
	v_mul_f16_e32 v202, 0x35c8, v62
	v_fma_f16 v85, v75, s2, v83
	v_add_f16_e32 v23, v23, v37
	v_add_f16_e32 v201, v13, v201
	v_fma_f16 v203, v21, s24, -v202
	v_add_f16_e32 v72, v85, v72
	v_mul_f16_e32 v85, 0xbacd, v98
	v_add_f16_e32 v23, v23, v38
	v_add_f16_e32 v201, v203, v201
	v_mul_f16_e32 v203, 0xb836, v68
	v_add_f16_e32 v191, v193, v191
	v_fma_f16 v193, v88, s14, -v196
	v_add_f16_e32 v173, v175, v173
	v_fma_f16 v175, v88, s24, -v178
	;; [unrolled: 2-line block ×4, first 2 shown]
	v_fma_f16 v87, v79, s28, v85
	v_add_f16_e32 v41, v13, v41
	v_add_f16_e32 v23, v23, v39
	v_fma_f16 v204, v59, s23, -v203
	v_add_f16_e32 v191, v193, v191
	v_fma_f16 v193, v91, s15, -v197
	;; [unrolled: 2-line block ×5, first 2 shown]
	v_add_f16_e32 v72, v87, v72
	v_mul_f16_e32 v87, 0xbbdd, v103
	v_add_f16_e32 v41, v41, v42
	v_add_f16_e32 v23, v23, v27
	;; [unrolled: 1-line block ×3, first 2 shown]
	v_mul_f16_e32 v204, 0x3964, v74
	v_add_f16_e32 v191, v193, v191
	v_fma_f16 v193, v98, s21, -v198
	v_add_f16_e32 v173, v175, v173
	v_fma_f16 v175, v98, s8, -v180
	;; [unrolled: 2-line block ×4, first 2 shown]
	v_fma_f16 v88, v84, s25, v87
	v_mul_f16_e32 v63, 0xb5c8, v63
	v_add_f16_e32 v41, v41, v43
	v_add_f16_e32 v23, v23, v28
	v_fma_f16 v205, v60, s8, -v204
	v_add_f16_e32 v191, v193, v191
	v_fma_f16 v193, v103, s9, -v199
	;; [unrolled: 2-line block ×5, first 2 shown]
	v_add_f16_e32 v72, v88, v72
	v_fma_f16 v88, v20, s24, v63
	v_mul_f16_e32 v62, 0xb964, v62
	v_add_f16_e32 v41, v41, v44
	v_add_f16_e32 v23, v23, v40
	;; [unrolled: 1-line block ×3, first 2 shown]
	v_mul_f16_e32 v205, 0xba62, v80
	v_add_f16_e32 v191, v193, v191
	v_fma_f16 v193, v20, s18, v200
	v_add_f16_e32 v173, v175, v173
	v_fma_f16 v175, v20, s23, v182
	;; [unrolled: 2-line block ×5, first 2 shown]
	v_mul_f16_e32 v68, 0xbb29, v68
	v_add_f16_e32 v41, v41, v45
	v_add_f16_e32 v22, v23, v22
	v_fma_f16 v23, v56, s26, v67
	v_fma_f16 v20, v20, s24, -v63
	v_fma_f16 v206, v65, s14, -v205
	v_add_f16_e32 v193, v13, v193
	v_add_f16_e32 v175, v13, v175
	;; [unrolled: 1-line block ×5, first 2 shown]
	v_fma_f16 v90, v59, s15, v68
	v_mul_f16_e32 v74, 0xbbf7, v74
	v_add_f16_e32 v41, v41, v46
	v_add_f16_sdwa v23, v13, v23 dst_sel:DWORD dst_unused:UNUSED_PAD src0_sel:WORD_1 src1_sel:DWORD
	v_add_f16_e32 v13, v13, v20
	v_fma_f16 v20, v21, s8, -v62
	v_add_f16_e32 v201, v206, v201
	v_mul_f16_e32 v206, 0x3b29, v86
	v_add_f16_e32 v88, v90, v88
	v_fma_f16 v90, v60, s9, v74
	v_mul_f16_e32 v80, 0xbbb2, v80
	v_add_f16_e32 v41, v41, v47
	v_add_f16_e32 v13, v20, v13
	v_fma_f16 v20, v59, s15, -v68
	v_fma_f16 v207, v66, s15, -v206
	v_add_f16_e32 v88, v90, v88
	v_fma_f16 v90, v65, s21, v80
	v_mul_f16_e32 v86, 0xba62, v86
	v_add_f16_e32 v41, v41, v48
	v_add_f16_e32 v13, v20, v13
	v_fma_f16 v20, v60, s9, -v74
	v_add_f16_e32 v201, v207, v201
	v_mul_f16_e32 v207, 0xbbb2, v89
	v_add_f16_e32 v88, v90, v88
	v_fma_f16 v90, v66, s14, v86
	v_mul_f16_e32 v89, 0xb836, v89
	v_add_f16_e32 v41, v41, v49
	v_add_f16_e32 v13, v20, v13
	v_fma_f16 v20, v65, s21, -v80
	v_add_f16_e32 v88, v90, v88
	v_fma_f16 v90, v73, s23, v89
	v_add_f16_e32 v41, v41, v50
	v_add_f16_e32 v13, v20, v13
	v_fma_f16 v20, v66, s14, -v86
	v_fma_f16 v143, v21, s23, v150
	v_add_f16_e32 v88, v90, v88
	v_mul_f16_e32 v90, 0xb1e1, v96
	v_add_f16_e32 v41, v41, v51
	v_add_f16_e32 v13, v20, v13
	v_fma_f16 v20, v73, s23, -v89
	v_fma_f16 v176, v21, s15, v184
	v_fma_f16 v159, v21, s21, v166
	v_add_f16_e32 v142, v143, v142
	v_fma_f16 v143, v59, s8, v151
	v_add_f16_e32 v41, v41, v52
	v_add_f16_e32 v13, v20, v13
	v_fma_f16 v20, v77, s18, -v90
	v_fma_f16 v194, v21, s24, v202
	v_add_f16_e32 v175, v176, v175
	v_fma_f16 v176, v59, s9, v185
	v_add_f16_e32 v158, v159, v158
	v_fma_f16 v159, v59, s24, v167
	v_add_f16_e32 v142, v143, v142
	v_fma_f16 v143, v60, s15, v152
	v_mul_f16_e32 v111, 0x3bb2, v75
	v_add_f16_e32 v41, v41, v53
	v_add_f16_e32 v13, v20, v13
	v_lshrrev_b32_e32 v20, 1, v3
	v_add_f16_e32 v193, v194, v193
	v_fma_f16 v194, v59, s23, v203
	v_add_f16_e32 v175, v176, v175
	v_fma_f16 v176, v60, s14, v186
	;; [unrolled: 2-line block ×4, first 2 shown]
	v_mul_f16_e32 v99, 0x3b29, v79
	v_sub_f16_e32 v104, v104, v111
	v_add_f16_e32 v41, v41, v54
	v_mul_u32_u24_e32 v20, 34, v20
	v_add_f16_e32 v193, v194, v193
	v_fma_f16 v194, v60, s8, v204
	v_add_f16_e32 v175, v176, v175
	v_fma_f16 v176, v65, s24, v187
	;; [unrolled: 2-line block ×4, first 2 shown]
	v_mul_f16_e32 v111, 0x35c8, v84
	v_add_f16_e32 v82, v104, v82
	v_sub_f16_e32 v99, v110, v99
	v_fma_f16 v91, v77, s18, v90
	v_add_f16_e32 v41, v41, v55
	v_or_b32_e32 v15, v20, v15
	v_add_f16_e32 v193, v194, v193
	v_fma_f16 v194, v65, s14, v205
	v_add_f16_e32 v175, v176, v175
	v_fma_f16 v176, v66, s18, v188
	;; [unrolled: 2-line block ×4, first 2 shown]
	v_add_f16_e32 v82, v99, v82
	v_sub_f16_e32 v99, v114, v111
	v_add_f16_e32 v88, v91, v88
	v_add_f16_e32 v41, v41, v57
	v_fma_f16 v24, v58, s16, v69
	v_lshlrev_b32_e32 v15, 2, v15
	v_fma_f16 v208, v73, s21, -v207
	v_add_f16_e32 v193, v194, v193
	v_fma_f16 v194, v66, s15, v206
	v_add_f16_e32 v175, v176, v175
	v_fma_f16 v176, v73, s8, v189
	;; [unrolled: 2-line block ×4, first 2 shown]
	v_add_f16_e32 v82, v99, v82
	v_add_f16_e32 v23, v24, v23
	v_fma_f16 v24, v61, s20, v76
	v_add3_u32 v15, 0, v15, v8
	v_pack_b32_f16 v20, v41, v22
	v_pack_b32_f16 v21, v88, v72
	v_add_f16_e32 v201, v208, v201
	v_mul_f16_e32 v208, 0x3bf7, v96
	v_add_f16_e32 v193, v194, v193
	v_fma_f16 v194, v73, s21, v207
	v_add_f16_e32 v175, v176, v175
	v_fma_f16 v176, v77, s21, v190
	;; [unrolled: 2-line block ×3, first 2 shown]
	v_add_f16_e32 v142, v143, v142
	s_mov_b32 s3, 0xbbb2
	v_add_f16_e32 v23, v24, v23
	v_fma_f16 v24, v64, s17, v78
	ds_write2_b32 v15, v20, v21 offset1:2
	v_pack_b32_f16 v20, v71, v82
	v_pack_b32_f16 v21, v94, v105
	v_fma_f16 v209, v77, s9, -v208
	v_add_f16_e32 v193, v194, v193
	v_fma_f16 v194, v77, s9, v208
	v_add_f16_e32 v175, v176, v175
	v_add_f16_e32 v158, v159, v158
	;; [unrolled: 1-line block ×3, first 2 shown]
	v_fma_f16 v24, v70, s3, v81
	ds_write2_b32 v15, v20, v21 offset0:4 offset1:6
	v_pack_b32_f16 v20, v126, v125
	v_pack_b32_f16 v21, v142, v141
	v_add_f16_e32 v201, v209, v201
	v_add_f16_e32 v193, v194, v193
	;; [unrolled: 1-line block ×3, first 2 shown]
	v_fma_f16 v24, v75, s19, v83
	ds_write2_b32 v15, v20, v21 offset0:8 offset1:10
	v_pack_b32_f16 v20, v158, v157
	v_pack_b32_f16 v21, v175, v173
	v_add_f16_e32 v23, v24, v23
	v_fma_f16 v24, v79, s29, v85
	ds_write2_b32 v15, v20, v21 offset0:12 offset1:14
	v_pack_b32_f16 v20, v193, v191
	v_pack_b32_f16 v21, v201, v192
	v_add_f16_e32 v23, v24, v23
	;; [unrolled: 5-line block ×3, first 2 shown]
	ds_write2_b32 v15, v20, v21 offset0:20 offset1:22
	v_pack_b32_f16 v20, v113, v108
	v_pack_b32_f16 v21, v101, v93
	s_mov_b32 s2, 0x5040100
	ds_write2_b32 v15, v20, v21 offset0:24 offset1:26
	v_perm_b32 v20, v33, v31, s2
	v_perm_b32 v21, v32, v19, s2
	v_pack_b32_f16 v13, v13, v23
	ds_write2_b32 v15, v20, v21 offset0:28 offset1:30
	ds_write_b32 v15, v13 offset:128
.LBB0_18:
	s_or_b64 exec, exec, s[6:7]
	v_add_u32_e32 v22, 0x800, v4
	s_waitcnt lgkmcnt(0)
	s_barrier
	ds_read2_b32 v[26:27], v22 offset0:134 offset1:202
	v_lshlrev_b32_e32 v22, 2, v16
	v_add3_u32 v34, 0, v22, v8
	v_lshlrev_b32_e32 v22, 2, v14
	v_add3_u32 v35, 0, v22, v8
	v_add_u32_e32 v22, 0xc00, v4
	v_add_u32_e32 v13, 0x600, v4
	v_lshlrev_b32_e32 v20, 2, v17
	ds_read2_b32 v[28:29], v22 offset0:14 offset1:82
	v_lshlrev_b32_e32 v22, 2, v12
	ds_read2_b32 v[24:25], v13 offset0:126 offset1:194
	v_lshlrev_b32_e32 v21, 2, v7
	v_add3_u32 v13, 0, v20, v8
	v_add3_u32 v37, 0, v22, v8
	v_lshlrev_b32_e32 v22, 2, v10
	ds_read_b32 v42, v11
	v_add3_u32 v15, 0, v21, v8
	v_add3_u32 v36, 0, v22, v8
	ds_read_b32 v44, v13
	ds_read_b32 v45, v34
	;; [unrolled: 1-line block ×6, first 2 shown]
	ds_read_b32 v49, v4 offset:3672
	v_lshlrev_b32_e32 v39, 2, v9
	s_and_saveexec_b64 s[2:3], s[0:1]
	s_cbranch_execz .LBB0_20
; %bb.19:
	v_add3_u32 v19, 0, v39, v8
	ds_read_b32 v31, v19
	ds_read_b32 v19, v4 offset:3944
	s_waitcnt lgkmcnt(1)
	v_lshrrev_b32_e32 v33, 16, v31
	s_waitcnt lgkmcnt(0)
	v_lshrrev_b32_e32 v32, 16, v19
.LBB0_20:
	s_or_b64 exec, exec, s[2:3]
	s_mov_b32 s6, 0xf0f1
	v_mul_u32_u24_sdwa v30, v12, s6 dst_sel:DWORD dst_unused:UNUSED_PAD src0_sel:WORD_0 src1_sel:DWORD
	v_lshrrev_b32_e32 v54, 21, v30
	v_mul_lo_u16_e32 v30, 34, v54
	v_sub_u16_e32 v30, v12, v30
	v_mul_u32_u24_sdwa v38, v10, s6 dst_sel:DWORD dst_unused:UNUSED_PAD src0_sel:WORD_0 src1_sel:DWORD
	s_movk_i32 s2, 0xf1
	v_mul_u32_u24_sdwa v41, v16, s6 dst_sel:DWORD dst_unused:UNUSED_PAD src0_sel:WORD_0 src1_sel:DWORD
	v_lshrrev_b32_e32 v55, 21, v38
	v_lshlrev_b32_e32 v58, 2, v30
	v_mul_lo_u16_sdwa v30, v17, s2 dst_sel:DWORD dst_unused:UNUSED_PAD src0_sel:BYTE_0 src1_sel:DWORD
	v_lshrrev_b32_e32 v52, 21, v41
	v_mul_u32_u24_sdwa v40, v14, s6 dst_sel:DWORD dst_unused:UNUSED_PAD src0_sel:WORD_0 src1_sel:DWORD
	v_mul_lo_u16_e32 v38, 34, v55
	v_lshrrev_b16_e32 v64, 13, v30
	v_mul_lo_u16_e32 v22, 34, v52
	v_lshrrev_b32_e32 v53, 21, v40
	v_sub_u16_e32 v38, v10, v38
	v_mul_lo_u16_e32 v30, 34, v64
	v_sub_u16_e32 v22, v16, v22
	v_mul_lo_u16_e32 v23, 34, v53
	v_lshlrev_b32_e32 v59, 2, v38
	v_sub_u16_e32 v30, v17, v30
	v_mov_b32_e32 v38, 2
	v_sub_u16_e32 v23, v14, v23
	v_lshlrev_b32_e32 v56, 2, v22
	v_subrev_u32_e32 v22, 34, v3
	v_lshlrev_b32_sdwa v65, v38, v30 dst_sel:DWORD dst_unused:UNUSED_PAD src0_sel:DWORD src1_sel:BYTE_0
	v_mul_lo_u16_sdwa v30, v7, s2 dst_sel:DWORD dst_unused:UNUSED_PAD src0_sel:BYTE_0 src1_sel:DWORD
	v_lshlrev_b32_e32 v57, 2, v23
	v_cndmask_b32_e64 v22, v22, v3, s[0:1]
	v_mov_b32_e32 v23, 0
	v_lshrrev_b16_e32 v67, 13, v30
	v_lshlrev_b64 v[50:51], 2, v[22:23]
	v_mul_lo_u16_e32 v30, 34, v67
	v_sub_u16_e32 v30, v7, v30
	global_load_dword v60, v59, s[12:13] offset:128
	global_load_dword v61, v58, s[12:13] offset:128
	global_load_dword v62, v57, s[12:13] offset:128
	global_load_dword v63, v56, s[12:13] offset:128
	global_load_dword v66, v65, s[12:13] offset:128
	v_lshlrev_b32_sdwa v68, v38, v30 dst_sel:DWORD dst_unused:UNUSED_PAD src0_sel:DWORD src1_sel:BYTE_0
	global_load_dword v69, v68, s[12:13] offset:128
	v_mov_b32_e32 v30, s13
	v_add_co_u32_e64 v50, s[2:3], s12, v50
	v_addc_co_u32_e64 v51, s[2:3], v30, v51, s[2:3]
	global_load_dword v50, v[50:51], off offset:128
	s_movk_i32 s8, 0x110
	v_mad_u32_u24 v52, v52, s8, 0
	v_mad_u32_u24 v53, v53, s8, 0
	;; [unrolled: 1-line block ×4, first 2 shown]
	v_add3_u32 v52, v52, v56, v8
	v_add3_u32 v53, v53, v57, v8
	s_mov_b32 s7, 0xffff
	v_add3_u32 v64, v64, v65, v8
	v_add3_u32 v54, v54, v58, v8
	v_mad_u32_u24 v55, v55, s8, 0
	v_mov_b32_e32 v51, 0x110
	v_cmp_lt_u32_e64 s[2:3], 33, v3
	v_add3_u32 v55, v55, v59, v8
	v_cndmask_b32_e64 v51, 0, v51, s[2:3]
	v_add_u32_e32 v51, 0, v51
	v_lshlrev_b32_e32 v22, 2, v22
	v_lshlrev_b32_e32 v30, 1, v3
	v_add3_u32 v22, v51, v22, v8
	v_mad_u32_u24 v51, v67, s8, 0
	v_add3_u32 v51, v51, v68, v8
	s_waitcnt vmcnt(0) lgkmcnt(0)
	s_barrier
	v_pk_mul_f16 v56, v60, v49 op_sel:[0,1]
	v_pk_mul_f16 v57, v61, v29 op_sel:[0,1]
	v_pk_mul_f16 v58, v62, v28 op_sel:[0,1]
	v_pk_fma_f16 v65, v60, v49, v56 op_sel:[0,0,1] op_sel_hi:[1,1,0]
	v_pk_fma_f16 v49, v60, v49, v56 op_sel:[0,0,1] op_sel_hi:[1,0,0] neg_lo:[1,0,0] neg_hi:[1,0,0]
	v_pk_fma_f16 v56, v61, v29, v57 op_sel:[0,0,1] op_sel_hi:[1,1,0]
	v_pk_fma_f16 v29, v61, v29, v57 op_sel:[0,0,1] op_sel_hi:[1,0,0] neg_lo:[1,0,0] neg_hi:[1,0,0]
	;; [unrolled: 2-line block ×3, first 2 shown]
	v_bfi_b32 v29, s7, v56, v29
	v_pk_mul_f16 v56, v66, v26 op_sel:[0,1]
	v_bfi_b32 v28, s7, v57, v28
	v_pk_fma_f16 v57, v66, v26, v56 op_sel:[0,0,1] op_sel_hi:[1,1,0]
	v_pk_fma_f16 v26, v66, v26, v56 op_sel:[0,0,1] op_sel_hi:[1,0,0] neg_lo:[1,0,0] neg_hi:[1,0,0]
	v_pk_mul_f16 v56, v69, v25 op_sel:[0,1]
	v_bfi_b32 v26, s7, v57, v26
	v_pk_fma_f16 v57, v69, v25, v56 op_sel:[0,0,1] op_sel_hi:[1,1,0]
	v_pk_fma_f16 v25, v69, v25, v56 op_sel:[0,0,1] op_sel_hi:[1,0,0] neg_lo:[1,0,0] neg_hi:[1,0,0]
	v_pk_mul_f16 v56, v50, v24 op_sel:[0,1]
	v_pk_mul_f16 v59, v63, v27 op_sel:[0,1]
	v_bfi_b32 v25, s7, v57, v25
	v_pk_fma_f16 v57, v50, v24, v56 op_sel:[0,0,1] op_sel_hi:[1,1,0]
	v_pk_fma_f16 v24, v50, v24, v56 op_sel:[0,0,1] op_sel_hi:[1,0,0] neg_lo:[1,0,0] neg_hi:[1,0,0]
	v_pk_fma_f16 v58, v63, v27, v59 op_sel:[0,0,1] op_sel_hi:[1,1,0]
	v_pk_fma_f16 v27, v63, v27, v59 op_sel:[0,0,1] op_sel_hi:[1,0,0] neg_lo:[1,0,0] neg_hi:[1,0,0]
	v_bfi_b32 v24, s7, v57, v24
	v_bfi_b32 v49, s7, v65, v49
	;; [unrolled: 1-line block ×3, first 2 shown]
	v_pk_add_f16 v24, v42, v24 neg_lo:[0,1] neg_hi:[0,1]
	v_pk_add_f16 v49, v48, v49 neg_lo:[0,1] neg_hi:[0,1]
	;; [unrolled: 1-line block ×7, first 2 shown]
	v_pk_fma_f16 v42, v42, 2.0, v24 op_sel_hi:[1,0,1] neg_lo:[0,0,1] neg_hi:[0,0,1]
	v_pk_fma_f16 v48, v48, 2.0, v49 op_sel_hi:[1,0,1] neg_lo:[0,0,1] neg_hi:[0,0,1]
	;; [unrolled: 1-line block ×7, first 2 shown]
	ds_write2_b32 v22, v42, v24 offset1:34
	ds_write2_b32 v51, v43, v25 offset1:34
	;; [unrolled: 1-line block ×7, first 2 shown]
	s_and_saveexec_b64 s[2:3], s[0:1]
	s_cbranch_execz .LBB0_22
; %bb.21:
	v_mul_u32_u24_sdwa v22, v9, s6 dst_sel:DWORD dst_unused:UNUSED_PAD src0_sel:WORD_0 src1_sel:DWORD
	v_lshrrev_b32_e32 v22, 21, v22
	v_mul_lo_u16_e32 v22, 34, v22
	v_sub_u16_e32 v22, v9, v22
	v_lshlrev_b32_e32 v22, 2, v22
	global_load_dword v24, v22, s[12:13] offset:128
	v_add3_u32 v22, 0, v22, v8
	v_add_u32_e32 v22, 0xc00, v22
	s_waitcnt vmcnt(0)
	v_mul_f16_sdwa v25, v32, v24 dst_sel:DWORD dst_unused:UNUSED_PAD src0_sel:DWORD src1_sel:WORD_1
	v_mul_f16_sdwa v26, v19, v24 dst_sel:DWORD dst_unused:UNUSED_PAD src0_sel:DWORD src1_sel:WORD_1
	v_fma_f16 v19, v19, v24, v25
	v_fma_f16 v24, v32, v24, -v26
	v_sub_f16_e32 v19, v31, v19
	v_sub_f16_e32 v24, v33, v24
	v_fma_f16 v25, v31, 2.0, -v19
	v_fma_f16 v26, v33, 2.0, -v24
	v_pack_b32_f16 v19, v19, v24
	v_pack_b32_f16 v24, v25, v26
	ds_write2_b32 v22, v24, v19 offset0:184 offset1:218
.LBB0_22:
	s_or_b64 exec, exec, s[2:3]
	v_mov_b32_e32 v31, v23
	v_lshlrev_b64 v[24:25], 2, v[30:31]
	v_mov_b32_e32 v43, s13
	v_add_co_u32_e64 v24, s[2:3], s12, v24
	v_addc_co_u32_e64 v25, s[2:3], v43, v25, s[2:3]
	s_movk_i32 s2, 0x79
	v_mul_lo_u16_sdwa v26, v17, s2 dst_sel:DWORD dst_unused:UNUSED_PAD src0_sel:BYTE_0 src1_sel:DWORD
	v_lshrrev_b16_e32 v26, 13, v26
	v_mul_lo_u16_e32 v26, 0x44, v26
	v_mov_b32_e32 v19, 3
	v_sub_u16_e32 v44, v17, v26
	v_lshrrev_b32_e32 v22, 22, v41
	v_lshlrev_b32_sdwa v19, v19, v44 dst_sel:DWORD dst_unused:UNUSED_PAD src0_sel:DWORD src1_sel:BYTE_0
	s_waitcnt lgkmcnt(0)
	s_barrier
	global_load_dwordx2 v[26:27], v19, s[12:13] offset:264
	v_mul_lo_u16_e32 v19, 0x44, v22
	v_sub_u16_e32 v19, v16, v19
	v_lshlrev_b32_e32 v22, 3, v19
	global_load_dwordx2 v[28:29], v22, s[12:13] offset:264
	v_lshrrev_b32_e32 v22, 22, v40
	global_load_dwordx2 v[24:25], v[24:25], off offset:264
	v_mul_lo_u16_e32 v22, 0x44, v22
	v_sub_u16_e32 v22, v14, v22
	v_lshlrev_b32_e32 v30, 3, v22
	global_load_dwordx2 v[30:31], v30, s[12:13] offset:264
	ds_read_b32 v47, v36
	ds_read_b32 v45, v11
	v_add_u32_e32 v46, 0x800, v4
	v_add3_u32 v48, 0, v39, v8
	v_add_u32_e32 v49, 0xc00, v4
	ds_read_b32 v50, v13
	ds_read_b32 v51, v34
	;; [unrolled: 1-line block ×5, first 2 shown]
	ds_read_b32 v55, v4 offset:3808
	ds_read2_b32 v[32:33], v46 offset0:168 offset1:236
	ds_read_b32 v56, v48
	ds_read2_b32 v[39:40], v49 offset0:48 offset1:116
	ds_read2_b32 v[41:42], v46 offset0:32 offset1:100
	s_waitcnt lgkmcnt(7)
	v_lshrrev_b32_e32 v63, 16, v52
	v_lshrrev_b32_e32 v64, 16, v47
	s_waitcnt lgkmcnt(2)
	v_lshrrev_b32_e32 v65, 16, v56
	s_waitcnt lgkmcnt(1)
	v_lshrrev_b32_e32 v68, 16, v40
	v_lshrrev_b32_e32 v70, 16, v32
	;; [unrolled: 1-line block ×3, first 2 shown]
	s_waitcnt lgkmcnt(0)
	v_lshrrev_b32_e32 v69, 16, v42
	v_lshrrev_b32_e32 v62, 16, v55
	;; [unrolled: 1-line block ×3, first 2 shown]
	s_mov_b32 s2, 0xbaee
	s_movk_i32 s3, 0x3aee
	v_lshrrev_b32_e32 v66, 16, v39
	v_lshrrev_b32_e32 v58, 16, v54
	;; [unrolled: 1-line block ×6, first 2 shown]
	s_waitcnt vmcnt(0)
	s_barrier
	v_lshlrev_b32_e32 v19, 2, v19
	v_add3_u32 v19, 0, v19, v8
	s_movk_i32 s7, 0x3b9c
	s_movk_i32 s8, 0x38b4
	;; [unrolled: 1-line block ×3, first 2 shown]
	v_mul_f16_sdwa v72, v24, v63 dst_sel:DWORD dst_unused:UNUSED_PAD src0_sel:WORD_1 src1_sel:DWORD
	v_mul_f16_sdwa v73, v24, v52 dst_sel:DWORD dst_unused:UNUSED_PAD src0_sel:WORD_1 src1_sel:DWORD
	;; [unrolled: 1-line block ×8, first 2 shown]
	v_fma_f16 v52, v24, v52, v72
	v_fma_f16 v63, v24, v63, -v73
	v_fma_f16 v47, v24, v47, v76
	v_fma_f16 v24, v24, v64, -v77
	v_mul_f16_sdwa v64, v65, v26 dst_sel:DWORD dst_unused:UNUSED_PAD src0_sel:DWORD src1_sel:WORD_1
	v_mul_f16_sdwa v76, v68, v29 dst_sel:DWORD dst_unused:UNUSED_PAD src0_sel:DWORD src1_sel:WORD_1
	v_fma_f16 v32, v25, v32, v74
	v_fma_f16 v70, v25, v70, -v75
	v_fma_f16 v33, v25, v33, v78
	v_fma_f16 v25, v25, v71, -v79
	v_mul_f16_sdwa v71, v56, v26 dst_sel:DWORD dst_unused:UNUSED_PAD src0_sel:DWORD src1_sel:WORD_1
	v_fma_f16 v56, v56, v26, v64
	v_fma_f16 v64, v40, v29, v76
	v_mul_f16_sdwa v40, v40, v29 dst_sel:DWORD dst_unused:UNUSED_PAD src0_sel:DWORD src1_sel:WORD_1
	v_fma_f16 v29, v68, v29, -v40
	v_mul_f16_sdwa v40, v69, v30 dst_sel:DWORD dst_unused:UNUSED_PAD src0_sel:DWORD src1_sel:WORD_1
	v_fma_f16 v40, v42, v30, v40
	v_mul_f16_sdwa v42, v42, v30 dst_sel:DWORD dst_unused:UNUSED_PAD src0_sel:DWORD src1_sel:WORD_1
	v_fma_f16 v30, v69, v30, -v42
	v_mul_f16_sdwa v42, v62, v31 dst_sel:DWORD dst_unused:UNUSED_PAD src0_sel:DWORD src1_sel:WORD_1
	v_fma_f16 v42, v55, v31, v42
	v_mul_f16_sdwa v55, v55, v31 dst_sel:DWORD dst_unused:UNUSED_PAD src0_sel:DWORD src1_sel:WORD_1
	v_fma_f16 v31, v62, v31, -v55
	v_add_f16_e32 v62, v52, v32
	v_add_f16_e32 v55, v45, v52
	v_fma_f16 v45, v62, -0.5, v45
	v_sub_f16_e32 v62, v63, v70
	v_fma_f16 v26, v65, v26, -v71
	v_fma_f16 v65, v62, s2, v45
	v_fma_f16 v45, v62, s3, v45
	v_add_f16_e32 v62, v57, v63
	v_add_f16_e32 v63, v63, v70
	;; [unrolled: 1-line block ×3, first 2 shown]
	v_fma_f16 v57, v63, -0.5, v57
	v_sub_f16_e32 v32, v52, v32
	v_add_f16_e32 v63, v47, v33
	v_mul_f16_sdwa v72, v66, v27 dst_sel:DWORD dst_unused:UNUSED_PAD src0_sel:DWORD src1_sel:WORD_1
	v_mul_f16_sdwa v73, v39, v27 dst_sel:DWORD dst_unused:UNUSED_PAD src0_sel:DWORD src1_sel:WORD_1
	v_fma_f16 v52, v32, s3, v57
	v_fma_f16 v32, v32, s2, v57
	v_add_f16_e32 v57, v54, v47
	v_fma_f16 v54, v63, -0.5, v54
	v_sub_f16_e32 v63, v24, v25
	v_fma_f16 v39, v39, v27, v72
	v_fma_f16 v27, v66, v27, -v73
	v_fma_f16 v66, v63, s2, v54
	v_fma_f16 v54, v63, s3, v54
	v_add_f16_e32 v63, v58, v24
	v_add_f16_e32 v24, v24, v25
	;; [unrolled: 1-line block ×3, first 2 shown]
	v_fma_f16 v24, v24, -0.5, v58
	v_sub_f16_e32 v25, v47, v33
	v_add_f16_e32 v47, v56, v39
	v_mul_f16_sdwa v74, v67, v28 dst_sel:DWORD dst_unused:UNUSED_PAD src0_sel:DWORD src1_sel:WORD_1
	v_add_f16_e32 v57, v57, v33
	v_fma_f16 v33, v25, s3, v24
	v_fma_f16 v24, v25, s2, v24
	v_add_f16_e32 v25, v50, v56
	v_fma_f16 v47, v47, -0.5, v50
	v_sub_f16_e32 v50, v26, v27
	v_mul_f16_sdwa v75, v41, v28 dst_sel:DWORD dst_unused:UNUSED_PAD src0_sel:DWORD src1_sel:WORD_1
	v_fma_f16 v41, v41, v28, v74
	v_fma_f16 v58, v50, s2, v47
	;; [unrolled: 1-line block ×3, first 2 shown]
	v_add_f16_e32 v50, v59, v26
	v_add_f16_e32 v26, v26, v27
	v_fma_f16 v28, v67, v28, -v75
	v_add_f16_e32 v50, v50, v27
	v_fma_f16 v26, v26, -0.5, v59
	v_sub_f16_e32 v27, v56, v39
	v_add_f16_e32 v56, v41, v64
	v_add_f16_e32 v25, v25, v39
	v_fma_f16 v39, v27, s3, v26
	v_fma_f16 v26, v27, s2, v26
	v_add_f16_e32 v27, v51, v41
	v_fma_f16 v51, v56, -0.5, v51
	v_sub_f16_e32 v56, v28, v29
	v_fma_f16 v59, v56, s2, v51
	v_fma_f16 v51, v56, s3, v51
	v_add_f16_e32 v56, v60, v28
	v_add_f16_e32 v28, v28, v29
	;; [unrolled: 1-line block ×3, first 2 shown]
	v_fma_f16 v28, v28, -0.5, v60
	v_sub_f16_e32 v29, v41, v64
	v_add_f16_e32 v60, v40, v42
	v_fma_f16 v41, v29, s3, v28
	v_fma_f16 v28, v29, s2, v28
	v_add_f16_e32 v29, v53, v40
	v_fma_f16 v53, v60, -0.5, v53
	v_sub_f16_e32 v60, v30, v31
	v_add_f16_e32 v27, v27, v64
	v_fma_f16 v64, v60, s2, v53
	v_fma_f16 v53, v60, s3, v53
	v_add_f16_e32 v60, v61, v30
	v_add_f16_e32 v30, v30, v31
	;; [unrolled: 1-line block ×4, first 2 shown]
	v_fma_f16 v30, v30, -0.5, v61
	v_sub_f16_e32 v31, v40, v42
	v_add_f16_e32 v29, v29, v42
	v_fma_f16 v40, v31, s3, v30
	v_fma_f16 v30, v31, s2, v30
	v_pack_b32_f16 v31, v55, v62
	v_pack_b32_f16 v42, v65, v52
	ds_write2_b32 v4, v31, v42 offset1:68
	v_pack_b32_f16 v31, v45, v32
	v_pack_b32_f16 v32, v57, v63
	ds_write2_b32 v4, v31, v32 offset0:136 offset1:204
	v_pack_b32_f16 v31, v66, v33
	v_pack_b32_f16 v24, v54, v24
	v_add_u32_e32 v32, 0x400, v4
	ds_write2_b32 v32, v31, v24 offset0:16 offset1:84
	v_lshlrev_b32_sdwa v24, v38, v44 dst_sel:DWORD dst_unused:UNUSED_PAD src0_sel:DWORD src1_sel:BYTE_0
	v_add3_u32 v24, 0, v24, v8
	v_pack_b32_f16 v25, v25, v50
	v_pack_b32_f16 v31, v58, v39
	v_add_u32_e32 v32, 0x400, v24
	ds_write2_b32 v32, v25, v31 offset0:152 offset1:220
	v_pack_b32_f16 v25, v47, v26
	ds_write_b32 v24, v25 offset:2176
	v_pack_b32_f16 v24, v27, v56
	v_pack_b32_f16 v25, v59, v41
	v_add_u32_e32 v26, 0x800, v19
	ds_write2_b32 v26, v24, v25 offset0:100 offset1:168
	v_pack_b32_f16 v24, v51, v28
	ds_write_b32 v19, v24 offset:2992
	v_lshlrev_b32_e32 v19, 2, v22
	v_add3_u32 v8, 0, v19, v8
	v_pack_b32_f16 v19, v29, v60
	v_pack_b32_f16 v22, v64, v40
	v_add_u32_e32 v24, 0xc00, v8
	ds_write2_b32 v24, v19, v22 offset0:48 offset1:116
	v_pack_b32_f16 v19, v53, v30
	ds_write_b32 v8, v19 offset:3808
	v_mov_b32_e32 v19, v23
	v_lshlrev_b64 v[24:25], 2, v[18:19]
	s_waitcnt lgkmcnt(0)
	v_add_co_u32_e64 v24, s[2:3], s12, v24
	v_addc_co_u32_e64 v25, s[2:3], v43, v25, s[2:3]
	s_barrier
	global_load_dwordx4 v[24:27], v[24:25], off offset:808
	v_mov_b32_e32 v22, v23
	v_lshlrev_b64 v[21:22], 2, v[21:22]
	v_add_co_u32_e64 v21, s[2:3], s12, v21
	v_addc_co_u32_e64 v22, s[2:3], v43, v22, s[2:3]
	global_load_dwordx4 v[28:31], v[21:22], off offset:808
	v_mov_b32_e32 v21, v23
	v_lshlrev_b64 v[19:20], 2, v[20:21]
	v_add_co_u32_e64 v19, s[2:3], s12, v19
	v_addc_co_u32_e64 v20, s[2:3], v43, v20, s[2:3]
	global_load_dwordx4 v[19:22], v[19:20], off offset:808
	ds_read_b32 v8, v11
	ds_read_b32 v23, v35
	ds_read_u16 v38, v35 offset:2
	ds_read_b32 v39, v37
	ds_read_b32 v40, v34
	;; [unrolled: 1-line block ×4, first 2 shown]
	ds_read_b32 v43, v4 offset:3808
	ds_read_b32 v45, v36
	ds_read_b32 v47, v48
	ds_read2_b32 v[32:33], v46 offset0:168 offset1:236
	ds_read2_b32 v[34:35], v49 offset0:48 offset1:116
	ds_read2_b32 v[36:37], v46 offset0:32 offset1:100
	s_waitcnt lgkmcnt(8)
	v_lshrrev_b32_e32 v56, 16, v40
	s_waitcnt lgkmcnt(3)
	v_lshrrev_b32_e32 v48, 16, v47
	s_waitcnt lgkmcnt(2)
	v_lshrrev_b32_e32 v49, 16, v32
	s_waitcnt lgkmcnt(1)
	v_lshrrev_b32_e32 v50, 16, v35
	v_lshrrev_b32_e32 v52, 16, v39
	s_waitcnt lgkmcnt(0)
	v_lshrrev_b32_e32 v53, 16, v36
	v_lshrrev_b32_e32 v54, 16, v33
	;; [unrolled: 1-line block ×3, first 2 shown]
	s_mov_b32 s2, 0xbb9c
	s_mov_b32 s3, 0xb8b4
	v_lshrrev_b32_e32 v44, 16, v8
	v_lshrrev_b32_e32 v46, 16, v42
	;; [unrolled: 1-line block ×3, first 2 shown]
	s_waitcnt vmcnt(0)
	s_barrier
	v_mul_f16_sdwa v57, v24, v56 dst_sel:DWORD dst_unused:UNUSED_PAD src0_sel:WORD_1 src1_sel:DWORD
	v_fma_f16 v57, v24, v40, v57
	v_mul_f16_sdwa v40, v24, v40 dst_sel:DWORD dst_unused:UNUSED_PAD src0_sel:WORD_1 src1_sel:DWORD
	v_fma_f16 v24, v24, v56, -v40
	v_lshrrev_b32_e32 v40, 16, v45
	v_mul_f16_sdwa v56, v25, v40 dst_sel:DWORD dst_unused:UNUSED_PAD src0_sel:WORD_1 src1_sel:DWORD
	v_fma_f16 v56, v25, v45, v56
	v_mul_f16_sdwa v45, v25, v45 dst_sel:DWORD dst_unused:UNUSED_PAD src0_sel:WORD_1 src1_sel:DWORD
	v_fma_f16 v25, v25, v40, -v45
	v_lshrrev_b32_e32 v40, 16, v37
	;; [unrolled: 5-line block ×3, first 2 shown]
	v_mul_f16_sdwa v40, v27, v37 dst_sel:DWORD dst_unused:UNUSED_PAD src0_sel:WORD_1 src1_sel:DWORD
	v_fma_f16 v40, v27, v34, v40
	v_mul_f16_sdwa v34, v27, v34 dst_sel:DWORD dst_unused:UNUSED_PAD src0_sel:WORD_1 src1_sel:DWORD
	v_fma_f16 v27, v27, v37, -v34
	v_mul_f16_sdwa v34, v38, v28 dst_sel:DWORD dst_unused:UNUSED_PAD src0_sel:DWORD src1_sel:WORD_1
	v_fma_f16 v34, v28, v23, v34
	v_mul_f16_sdwa v23, v28, v23 dst_sel:DWORD dst_unused:UNUSED_PAD src0_sel:WORD_1 src1_sel:DWORD
	v_fma_f16 v23, v38, v28, -v23
	v_mul_f16_sdwa v28, v48, v29 dst_sel:DWORD dst_unused:UNUSED_PAD src0_sel:DWORD src1_sel:WORD_1
	v_mul_f16_sdwa v37, v47, v29 dst_sel:DWORD dst_unused:UNUSED_PAD src0_sel:DWORD src1_sel:WORD_1
	v_fma_f16 v28, v47, v29, v28
	v_fma_f16 v29, v48, v29, -v37
	v_mul_f16_sdwa v37, v49, v30 dst_sel:DWORD dst_unused:UNUSED_PAD src0_sel:DWORD src1_sel:WORD_1
	v_fma_f16 v37, v32, v30, v37
	v_mul_f16_sdwa v32, v32, v30 dst_sel:DWORD dst_unused:UNUSED_PAD src0_sel:DWORD src1_sel:WORD_1
	v_fma_f16 v30, v49, v30, -v32
	v_mul_f16_sdwa v32, v50, v31 dst_sel:DWORD dst_unused:UNUSED_PAD src0_sel:DWORD src1_sel:WORD_1
	v_fma_f16 v32, v35, v31, v32
	v_mul_f16_sdwa v35, v35, v31 dst_sel:DWORD dst_unused:UNUSED_PAD src0_sel:DWORD src1_sel:WORD_1
	v_fma_f16 v31, v50, v31, -v35
	v_mul_f16_sdwa v35, v52, v19 dst_sel:DWORD dst_unused:UNUSED_PAD src0_sel:DWORD src1_sel:WORD_1
	v_mul_f16_sdwa v38, v39, v19 dst_sel:DWORD dst_unused:UNUSED_PAD src0_sel:DWORD src1_sel:WORD_1
	v_fma_f16 v35, v39, v19, v35
	v_fma_f16 v19, v52, v19, -v38
	v_mul_f16_sdwa v38, v53, v20 dst_sel:DWORD dst_unused:UNUSED_PAD src0_sel:DWORD src1_sel:WORD_1
	v_fma_f16 v38, v36, v20, v38
	v_mul_f16_sdwa v36, v36, v20 dst_sel:DWORD dst_unused:UNUSED_PAD src0_sel:DWORD src1_sel:WORD_1
	v_fma_f16 v20, v53, v20, -v36
	v_mul_f16_sdwa v36, v54, v21 dst_sel:DWORD dst_unused:UNUSED_PAD src0_sel:DWORD src1_sel:WORD_1
	v_fma_f16 v36, v33, v21, v36
	v_mul_f16_sdwa v33, v33, v21 dst_sel:DWORD dst_unused:UNUSED_PAD src0_sel:DWORD src1_sel:WORD_1
	;; [unrolled: 4-line block ×3, first 2 shown]
	v_add_f16_e32 v43, v56, v45
	v_fma_f16 v43, v43, -0.5, v8
	v_sub_f16_e32 v47, v24, v27
	v_fma_f16 v48, v47, s2, v43
	v_sub_f16_e32 v49, v25, v26
	v_sub_f16_e32 v50, v57, v56
	;; [unrolled: 1-line block ×3, first 2 shown]
	v_fma_f16 v43, v47, s7, v43
	v_fma_f16 v48, v49, s3, v48
	v_add_f16_e32 v50, v50, v52
	v_fma_f16 v43, v49, s8, v43
	v_fma_f16 v22, v55, v22, -v39
	v_add_f16_e32 v39, v8, v57
	v_fma_f16 v48, v50, s6, v48
	v_fma_f16 v43, v50, s6, v43
	v_add_f16_e32 v50, v57, v40
	v_add_f16_e32 v39, v39, v56
	v_fma_f16 v8, v50, -0.5, v8
	v_add_f16_e32 v39, v39, v45
	v_fma_f16 v50, v49, s7, v8
	v_sub_f16_e32 v52, v56, v57
	v_sub_f16_e32 v53, v45, v40
	v_fma_f16 v8, v49, s2, v8
	v_add_f16_e32 v49, v25, v26
	v_add_f16_e32 v39, v39, v40
	v_fma_f16 v50, v47, s3, v50
	v_add_f16_e32 v52, v52, v53
	v_fma_f16 v8, v47, s8, v8
	v_fma_f16 v49, v49, -0.5, v44
	v_sub_f16_e32 v40, v57, v40
	v_fma_f16 v50, v52, s6, v50
	v_fma_f16 v8, v52, s6, v8
	;; [unrolled: 1-line block ×3, first 2 shown]
	v_sub_f16_e32 v45, v56, v45
	v_sub_f16_e32 v53, v24, v25
	v_sub_f16_e32 v54, v27, v26
	v_fma_f16 v49, v40, s2, v49
	v_add_f16_e32 v47, v44, v24
	v_fma_f16 v52, v45, s8, v52
	v_add_f16_e32 v53, v53, v54
	;; [unrolled: 2-line block ×3, first 2 shown]
	v_fma_f16 v52, v53, s6, v52
	v_fma_f16 v49, v53, s6, v49
	v_add_f16_e32 v53, v24, v27
	v_add_f16_e32 v47, v47, v26
	v_fma_f16 v44, v53, -0.5, v44
	v_add_f16_e32 v47, v47, v27
	v_fma_f16 v53, v45, s2, v44
	v_sub_f16_e32 v24, v25, v24
	v_sub_f16_e32 v25, v26, v27
	v_fma_f16 v26, v45, s7, v44
	v_add_f16_e32 v27, v28, v37
	v_fma_f16 v53, v40, s8, v53
	v_add_f16_e32 v24, v24, v25
	v_fma_f16 v26, v40, s3, v26
	v_fma_f16 v27, v27, -0.5, v42
	v_sub_f16_e32 v40, v23, v31
	v_fma_f16 v25, v24, s6, v53
	v_fma_f16 v44, v40, s2, v27
	v_sub_f16_e32 v45, v29, v30
	v_sub_f16_e32 v53, v34, v28
	;; [unrolled: 1-line block ×3, first 2 shown]
	v_fma_f16 v27, v40, s7, v27
	v_fma_f16 v44, v45, s3, v44
	v_add_f16_e32 v53, v53, v54
	v_fma_f16 v27, v45, s8, v27
	v_fma_f16 v24, v24, s6, v26
	v_add_f16_e32 v26, v42, v34
	;; [unrolled: 3-line block ×3, first 2 shown]
	v_add_f16_e32 v26, v26, v28
	v_fma_f16 v42, v53, -0.5, v42
	v_add_f16_e32 v26, v26, v37
	v_fma_f16 v53, v45, s7, v42
	v_sub_f16_e32 v54, v28, v34
	v_sub_f16_e32 v55, v37, v32
	v_fma_f16 v42, v45, s2, v42
	v_add_f16_e32 v45, v29, v30
	v_add_f16_e32 v26, v26, v32
	v_fma_f16 v53, v40, s3, v53
	v_add_f16_e32 v54, v54, v55
	v_fma_f16 v40, v40, s8, v42
	v_fma_f16 v45, v45, -0.5, v46
	v_sub_f16_e32 v32, v34, v32
	v_fma_f16 v53, v54, s6, v53
	v_fma_f16 v40, v54, s6, v40
	;; [unrolled: 1-line block ×3, first 2 shown]
	v_sub_f16_e32 v28, v28, v37
	v_sub_f16_e32 v37, v23, v29
	;; [unrolled: 1-line block ×3, first 2 shown]
	v_fma_f16 v45, v32, s2, v45
	v_fma_f16 v34, v28, s8, v34
	v_add_f16_e32 v37, v37, v54
	v_fma_f16 v45, v28, s3, v45
	v_add_f16_e32 v42, v46, v23
	v_fma_f16 v34, v37, s6, v34
	v_fma_f16 v37, v37, s6, v45
	v_add_f16_e32 v45, v23, v31
	v_add_f16_e32 v42, v42, v29
	v_fma_f16 v45, v45, -0.5, v46
	v_add_f16_e32 v42, v42, v30
	v_fma_f16 v46, v28, s2, v45
	v_sub_f16_e32 v23, v29, v23
	v_sub_f16_e32 v29, v30, v31
	v_add_f16_e32 v30, v38, v36
	v_add_f16_e32 v42, v42, v31
	v_fma_f16 v46, v32, s8, v46
	v_add_f16_e32 v23, v23, v29
	v_fma_f16 v28, v28, s7, v45
	v_fma_f16 v30, v30, -0.5, v41
	v_sub_f16_e32 v31, v19, v22
	v_fma_f16 v29, v23, s6, v46
	v_fma_f16 v28, v32, s3, v28
	;; [unrolled: 1-line block ×3, first 2 shown]
	v_sub_f16_e32 v45, v20, v21
	v_sub_f16_e32 v46, v35, v38
	;; [unrolled: 1-line block ×3, first 2 shown]
	v_fma_f16 v30, v31, s7, v30
	v_fma_f16 v32, v45, s3, v32
	v_add_f16_e32 v46, v46, v54
	v_fma_f16 v30, v45, s8, v30
	v_fma_f16 v23, v23, s6, v28
	v_add_f16_e32 v28, v41, v35
	;; [unrolled: 3-line block ×3, first 2 shown]
	v_add_f16_e32 v28, v28, v38
	v_fma_f16 v41, v46, -0.5, v41
	v_add_f16_e32 v28, v28, v36
	v_fma_f16 v46, v45, s7, v41
	v_sub_f16_e32 v54, v38, v35
	v_sub_f16_e32 v55, v36, v33
	v_fma_f16 v41, v45, s2, v41
	v_add_f16_e32 v45, v20, v21
	v_add_f16_e32 v28, v28, v33
	v_fma_f16 v46, v31, s3, v46
	v_add_f16_e32 v54, v54, v55
	v_fma_f16 v31, v31, s8, v41
	v_fma_f16 v45, v45, -0.5, v51
	v_sub_f16_e32 v33, v35, v33
	v_fma_f16 v46, v54, s6, v46
	v_fma_f16 v31, v54, s6, v31
	;; [unrolled: 1-line block ×3, first 2 shown]
	v_sub_f16_e32 v36, v38, v36
	v_sub_f16_e32 v38, v19, v20
	;; [unrolled: 1-line block ×3, first 2 shown]
	v_fma_f16 v45, v33, s2, v45
	v_fma_f16 v35, v36, s8, v35
	v_add_f16_e32 v38, v38, v54
	v_fma_f16 v45, v36, s3, v45
	v_add_f16_e32 v41, v51, v19
	v_fma_f16 v35, v38, s6, v35
	v_fma_f16 v38, v38, s6, v45
	v_add_f16_e32 v45, v19, v22
	v_add_f16_e32 v41, v41, v20
	v_fma_f16 v45, v45, -0.5, v51
	v_add_f16_e32 v41, v41, v21
	v_fma_f16 v51, v36, s2, v45
	v_sub_f16_e32 v19, v20, v19
	v_sub_f16_e32 v20, v21, v22
	v_fma_f16 v21, v36, s7, v45
	v_fma_f16 v51, v33, s8, v51
	v_add_f16_e32 v19, v19, v20
	v_fma_f16 v21, v33, s3, v21
	v_add_f16_e32 v41, v41, v22
	v_fma_f16 v20, v19, s6, v51
	v_fma_f16 v19, v19, s6, v21
	v_pack_b32_f16 v21, v39, v47
	v_pack_b32_f16 v22, v48, v52
	ds_write2_b32 v4, v21, v22 offset1:204
	v_pack_b32_f16 v21, v50, v25
	v_pack_b32_f16 v8, v8, v24
	v_add_u32_e32 v22, 0x600, v4
	ds_write2_b32 v22, v21, v8 offset0:24 offset1:228
	v_pack_b32_f16 v8, v43, v49
	ds_write_b32 v4, v8 offset:3264
	v_pack_b32_f16 v4, v26, v42
	v_pack_b32_f16 v8, v44, v34
	ds_write2_b32 v15, v4, v8 offset1:204
	v_pack_b32_f16 v4, v53, v29
	v_pack_b32_f16 v8, v40, v23
	v_add_u32_e32 v21, 0x600, v15
	ds_write2_b32 v21, v4, v8 offset0:24 offset1:228
	v_pack_b32_f16 v4, v27, v37
	ds_write_b32 v15, v4 offset:3264
	;; [unrolled: 9-line block ×3, first 2 shown]
	s_waitcnt lgkmcnt(0)
	s_barrier
	ds_read_b32 v8, v11
	v_sub_u32_e32 v19, v0, v18
	v_cmp_ne_u32_e64 s[2:3], 0, v3
                                        ; implicit-def: $vgpr13
                                        ; implicit-def: $vgpr4
                                        ; implicit-def: $vgpr15
	s_and_saveexec_b64 s[6:7], s[2:3]
	s_xor_b64 s[6:7], exec, s[6:7]
	s_cbranch_execz .LBB0_24
; %bb.23:
	v_mov_b32_e32 v4, 0
	v_lshlrev_b64 v[20:21], 2, v[3:4]
	v_mov_b32_e32 v4, s13
	v_add_co_u32_e64 v20, s[2:3], s12, v20
	v_addc_co_u32_e64 v21, s[2:3], v4, v21, s[2:3]
	global_load_dword v13, v[20:21], off offset:4072
	ds_read_b32 v4, v19 offset:4080
	s_waitcnt lgkmcnt(0)
	v_add_f16_sdwa v15, v4, v8 dst_sel:DWORD dst_unused:UNUSED_PAD src0_sel:WORD_1 src1_sel:WORD_1
	v_sub_f16_e32 v20, v8, v4
	v_add_f16_e32 v18, v4, v8
	v_sub_f16_sdwa v4, v8, v4 dst_sel:DWORD dst_unused:UNUSED_PAD src0_sel:WORD_1 src1_sel:WORD_1
	v_mul_f16_e32 v8, 0.5, v15
	v_mul_f16_e32 v20, 0.5, v20
	;; [unrolled: 1-line block ×3, first 2 shown]
	s_waitcnt vmcnt(0)
	v_lshrrev_b32_e32 v15, 16, v13
	v_mul_f16_e32 v21, v15, v20
	v_fma_f16 v22, v8, v15, v4
	v_fma_f16 v23, v8, v15, -v4
	v_fma_f16 v4, v18, 0.5, v21
	v_fma_f16 v18, v18, 0.5, -v21
	v_fma_f16 v21, v13, v8, v4
	v_fma_f16 v15, -v13, v20, v22
	v_fma_f16 v4, -v13, v8, v18
	ds_write_b16 v11, v21
	v_fma_f16 v13, -v13, v20, v23
                                        ; implicit-def: $vgpr8
.LBB0_24:
	s_andn2_saveexec_b64 s[2:3], s[6:7]
	s_cbranch_execz .LBB0_26
; %bb.25:
	ds_read_u16 v13, v0 offset:2042
	s_waitcnt lgkmcnt(1)
	v_add_f16_sdwa v18, v8, v8 dst_sel:DWORD dst_unused:UNUSED_PAD src0_sel:WORD_1 src1_sel:DWORD
	v_sub_f16_sdwa v4, v8, v8 dst_sel:DWORD dst_unused:UNUSED_PAD src0_sel:DWORD src1_sel:WORD_1
	v_mov_b32_e32 v15, 0
	ds_write_b16 v11, v18
	s_waitcnt lgkmcnt(1)
	v_xor_b32_e32 v8, 0x8000, v13
	v_mov_b32_e32 v13, 0
	ds_write_b16 v0, v8 offset:2042
.LBB0_26:
	s_or_b64 exec, exec, s[2:3]
	s_waitcnt lgkmcnt(0)
	v_mov_b32_e32 v8, 0
	v_lshlrev_b64 v[20:21], 2, v[7:8]
	v_mov_b32_e32 v24, s13
	v_add_co_u32_e64 v20, s[2:3], s12, v20
	v_addc_co_u32_e64 v21, s[2:3], v24, v21, s[2:3]
	global_load_dword v25, v[20:21], off offset:4072
	v_mov_b32_e32 v18, v8
	v_lshlrev_b64 v[20:21], 2, v[17:18]
	v_lshl_add_u32 v27, v17, 2, v0
	v_add_co_u32_e64 v20, s[2:3], s12, v20
	v_addc_co_u32_e64 v21, s[2:3], v24, v21, s[2:3]
	global_load_dword v26, v[20:21], off offset:4072
	v_mov_b32_e32 v17, v8
	v_lshlrev_b64 v[17:18], 2, v[16:17]
	ds_write_b16 v11, v15 offset:2
	v_add_co_u32_e64 v17, s[2:3], s12, v17
	v_addc_co_u32_e64 v18, s[2:3], v24, v18, s[2:3]
	global_load_dword v28, v[17:18], off offset:4072
	v_mov_b32_e32 v15, v8
	s_mov_b32 s7, 0x5040100
	v_lshlrev_b64 v[17:18], 2, v[14:15]
	v_perm_b32 v4, v13, v4, s7
	v_mov_b32_e32 v13, v8
	v_lshlrev_b64 v[20:21], 2, v[12:13]
	v_add_co_u32_e64 v17, s[2:3], s12, v17
	v_mov_b32_e32 v11, v8
	v_addc_co_u32_e64 v18, s[2:3], v24, v18, s[2:3]
	v_lshlrev_b64 v[22:23], 2, v[10:11]
	v_add_co_u32_e64 v20, s[2:3], s12, v20
	v_addc_co_u32_e64 v21, s[2:3], v24, v21, s[2:3]
	v_lshl_add_u32 v7, v7, 2, v0
	ds_write_b32 v19, v4 offset:4080
	v_add_co_u32_e64 v22, s[2:3], s12, v22
	ds_read_b32 v4, v7
	ds_read_b32 v11, v19 offset:3808
	v_addc_co_u32_e64 v23, s[2:3], v24, v23, s[2:3]
	global_load_dword v13, v[17:18], off offset:4072
	global_load_dword v15, v[20:21], off offset:4072
	global_load_dword v24, v[22:23], off offset:4072
	s_mov_b32 s6, 0xffff
	s_waitcnt lgkmcnt(0)
	v_pk_add_f16 v17, v4, v11 neg_lo:[0,1] neg_hi:[0,1]
	v_pk_add_f16 v4, v4, v11
	v_bfi_b32 v11, s6, v17, v4
	v_bfi_b32 v4, s6, v4, v17
	v_pk_mul_f16 v11, v11, 0.5 op_sel_hi:[1,0]
	v_pk_mul_f16 v4, v4, 0.5 op_sel_hi:[1,0]
	v_lshl_add_u32 v14, v14, 2, v0
	s_waitcnt vmcnt(5)
	v_pk_fma_f16 v17, v25, v11, v4 op_sel:[1,0,0]
	v_pk_mul_f16 v18, v25, v11 op_sel_hi:[0,1]
	v_pk_fma_f16 v20, v25, v11, v4 op_sel:[1,0,0] neg_lo:[1,0,0] neg_hi:[1,0,0]
	v_pk_fma_f16 v4, v25, v11, v4 op_sel:[1,0,0] neg_lo:[0,0,1] neg_hi:[0,0,1]
	v_pk_add_f16 v11, v17, v18 op_sel:[0,1] op_sel_hi:[1,0]
	v_pk_add_f16 v17, v17, v18 op_sel:[0,1] op_sel_hi:[1,0] neg_lo:[0,1] neg_hi:[0,1]
	v_pk_add_f16 v20, v20, v18 op_sel:[0,1] op_sel_hi:[1,0] neg_lo:[0,1] neg_hi:[0,1]
	;; [unrolled: 1-line block ×3, first 2 shown]
	v_bfi_b32 v11, s6, v11, v17
	v_bfi_b32 v4, s6, v20, v4
	ds_write_b32 v7, v11
	ds_write_b32 v19, v4 offset:3808
	ds_read_b32 v4, v27
	ds_read_b32 v7, v19 offset:3536
	v_lshl_add_u32 v11, v16, 2, v0
	s_waitcnt lgkmcnt(0)
	v_pk_add_f16 v16, v4, v7 neg_lo:[0,1] neg_hi:[0,1]
	v_pk_add_f16 v4, v4, v7
	v_bfi_b32 v7, s6, v16, v4
	v_bfi_b32 v4, s6, v4, v16
	v_pk_mul_f16 v7, v7, 0.5 op_sel_hi:[1,0]
	v_pk_mul_f16 v4, v4, 0.5 op_sel_hi:[1,0]
	s_waitcnt vmcnt(4)
	v_pk_fma_f16 v16, v26, v7, v4 op_sel:[1,0,0]
	v_pk_mul_f16 v17, v26, v7 op_sel_hi:[0,1]
	v_pk_fma_f16 v18, v26, v7, v4 op_sel:[1,0,0] neg_lo:[1,0,0] neg_hi:[1,0,0]
	v_pk_fma_f16 v4, v26, v7, v4 op_sel:[1,0,0] neg_lo:[0,0,1] neg_hi:[0,0,1]
	v_pk_add_f16 v7, v16, v17 op_sel:[0,1] op_sel_hi:[1,0]
	v_pk_add_f16 v16, v16, v17 op_sel:[0,1] op_sel_hi:[1,0] neg_lo:[0,1] neg_hi:[0,1]
	v_pk_add_f16 v18, v18, v17 op_sel:[0,1] op_sel_hi:[1,0] neg_lo:[0,1] neg_hi:[0,1]
	;; [unrolled: 1-line block ×3, first 2 shown]
	v_bfi_b32 v7, s6, v7, v16
	v_bfi_b32 v4, s6, v18, v4
	ds_write_b32 v27, v7
	ds_write_b32 v19, v4 offset:3536
	ds_read_b32 v4, v11
	ds_read_b32 v7, v19 offset:3264
	s_waitcnt lgkmcnt(0)
	v_pk_add_f16 v16, v4, v7 neg_lo:[0,1] neg_hi:[0,1]
	v_pk_add_f16 v4, v4, v7
	v_bfi_b32 v7, s6, v16, v4
	v_bfi_b32 v4, s6, v4, v16
	v_pk_mul_f16 v7, v7, 0.5 op_sel_hi:[1,0]
	v_pk_mul_f16 v4, v4, 0.5 op_sel_hi:[1,0]
	s_waitcnt vmcnt(3)
	v_pk_fma_f16 v16, v28, v7, v4 op_sel:[1,0,0]
	v_pk_mul_f16 v17, v28, v7 op_sel_hi:[0,1]
	v_pk_fma_f16 v18, v28, v7, v4 op_sel:[1,0,0] neg_lo:[1,0,0] neg_hi:[1,0,0]
	v_pk_fma_f16 v4, v28, v7, v4 op_sel:[1,0,0] neg_lo:[0,0,1] neg_hi:[0,0,1]
	v_pk_add_f16 v7, v16, v17 op_sel:[0,1] op_sel_hi:[1,0]
	v_pk_add_f16 v16, v16, v17 op_sel:[0,1] op_sel_hi:[1,0] neg_lo:[0,1] neg_hi:[0,1]
	v_pk_add_f16 v18, v18, v17 op_sel:[0,1] op_sel_hi:[1,0] neg_lo:[0,1] neg_hi:[0,1]
	;; [unrolled: 1-line block ×3, first 2 shown]
	v_bfi_b32 v7, s6, v7, v16
	v_bfi_b32 v4, s6, v18, v4
	ds_write_b32 v11, v7
	ds_write_b32 v19, v4 offset:3264
	ds_read_b32 v4, v14
	ds_read_b32 v7, v19 offset:2992
	s_waitcnt lgkmcnt(0)
	v_pk_add_f16 v11, v4, v7 neg_lo:[0,1] neg_hi:[0,1]
	v_pk_add_f16 v4, v4, v7
	v_bfi_b32 v7, s6, v11, v4
	v_bfi_b32 v4, s6, v4, v11
	v_pk_mul_f16 v7, v7, 0.5 op_sel_hi:[1,0]
	v_pk_mul_f16 v4, v4, 0.5 op_sel_hi:[1,0]
	s_waitcnt vmcnt(2)
	v_pk_fma_f16 v11, v13, v7, v4 op_sel:[1,0,0]
	v_pk_mul_f16 v16, v13, v7 op_sel_hi:[0,1]
	v_pk_add_f16 v17, v11, v16 op_sel:[0,1] op_sel_hi:[1,0]
	v_pk_add_f16 v11, v11, v16 op_sel:[0,1] op_sel_hi:[1,0] neg_lo:[0,1] neg_hi:[0,1]
	v_bfi_b32 v11, s6, v17, v11
	ds_write_b32 v14, v11
	v_pk_fma_f16 v11, v13, v7, v4 op_sel:[1,0,0] neg_lo:[1,0,0] neg_hi:[1,0,0]
	v_pk_fma_f16 v4, v13, v7, v4 op_sel:[1,0,0] neg_lo:[0,0,1] neg_hi:[0,0,1]
	v_pk_add_f16 v11, v11, v16 op_sel:[0,1] op_sel_hi:[1,0] neg_lo:[0,1] neg_hi:[0,1]
	v_pk_add_f16 v4, v4, v16 op_sel:[0,1] op_sel_hi:[1,0] neg_lo:[0,1] neg_hi:[0,1]
	v_bfi_b32 v4, s6, v11, v4
	ds_write_b32 v19, v4 offset:2992
	v_lshl_add_u32 v4, v12, 2, v0
	ds_read_b32 v7, v4
	ds_read_b32 v11, v19 offset:2720
	s_waitcnt lgkmcnt(0)
	v_pk_add_f16 v12, v7, v11 neg_lo:[0,1] neg_hi:[0,1]
	v_pk_add_f16 v7, v7, v11
	v_bfi_b32 v11, s6, v12, v7
	v_bfi_b32 v7, s6, v7, v12
	v_pk_mul_f16 v11, v11, 0.5 op_sel_hi:[1,0]
	v_pk_mul_f16 v7, v7, 0.5 op_sel_hi:[1,0]
	s_waitcnt vmcnt(1)
	v_pk_fma_f16 v12, v15, v11, v7 op_sel:[1,0,0]
	v_pk_mul_f16 v13, v15, v11 op_sel_hi:[0,1]
	v_pk_add_f16 v14, v12, v13 op_sel:[0,1] op_sel_hi:[1,0]
	v_pk_add_f16 v12, v12, v13 op_sel:[0,1] op_sel_hi:[1,0] neg_lo:[0,1] neg_hi:[0,1]
	v_bfi_b32 v12, s6, v14, v12
	ds_write_b32 v4, v12
	v_pk_fma_f16 v4, v15, v11, v7 op_sel:[1,0,0] neg_lo:[1,0,0] neg_hi:[1,0,0]
	v_pk_fma_f16 v7, v15, v11, v7 op_sel:[1,0,0] neg_lo:[0,0,1] neg_hi:[0,0,1]
	v_pk_add_f16 v4, v4, v13 op_sel:[0,1] op_sel_hi:[1,0] neg_lo:[0,1] neg_hi:[0,1]
	v_pk_add_f16 v7, v7, v13 op_sel:[0,1] op_sel_hi:[1,0] neg_lo:[0,1] neg_hi:[0,1]
	v_bfi_b32 v4, s6, v4, v7
	ds_write_b32 v19, v4 offset:2720
	v_lshl_add_u32 v4, v10, 2, v0
	ds_read_b32 v7, v4
	ds_read_b32 v10, v19 offset:2448
	s_waitcnt lgkmcnt(0)
	v_pk_add_f16 v11, v7, v10 neg_lo:[0,1] neg_hi:[0,1]
	v_pk_add_f16 v7, v7, v10
	v_bfi_b32 v10, s6, v11, v7
	v_bfi_b32 v7, s6, v7, v11
	v_pk_mul_f16 v10, v10, 0.5 op_sel_hi:[1,0]
	v_pk_mul_f16 v7, v7, 0.5 op_sel_hi:[1,0]
	s_waitcnt vmcnt(0)
	v_pk_fma_f16 v11, v24, v10, v7 op_sel:[1,0,0]
	v_pk_mul_f16 v12, v24, v10 op_sel_hi:[0,1]
	v_pk_add_f16 v13, v11, v12 op_sel:[0,1] op_sel_hi:[1,0]
	v_pk_add_f16 v11, v11, v12 op_sel:[0,1] op_sel_hi:[1,0] neg_lo:[0,1] neg_hi:[0,1]
	v_bfi_b32 v11, s6, v13, v11
	ds_write_b32 v4, v11
	v_pk_fma_f16 v4, v24, v10, v7 op_sel:[1,0,0] neg_lo:[1,0,0] neg_hi:[1,0,0]
	v_pk_fma_f16 v7, v24, v10, v7 op_sel:[1,0,0] neg_lo:[0,0,1] neg_hi:[0,0,1]
	v_pk_add_f16 v4, v4, v12 op_sel:[0,1] op_sel_hi:[1,0] neg_lo:[0,1] neg_hi:[0,1]
	v_pk_add_f16 v7, v7, v12 op_sel:[0,1] op_sel_hi:[1,0] neg_lo:[0,1] neg_hi:[0,1]
	v_bfi_b32 v4, s6, v4, v7
	ds_write_b32 v19, v4 offset:2448
	s_and_saveexec_b64 s[2:3], s[0:1]
	s_cbranch_execz .LBB0_28
; %bb.27:
	v_mov_b32_e32 v10, v8
	v_lshlrev_b64 v[7:8], 2, v[9:10]
	v_mov_b32_e32 v4, s13
	v_add_co_u32_e64 v7, s[0:1], s12, v7
	v_addc_co_u32_e64 v8, s[0:1], v4, v8, s[0:1]
	global_load_dword v4, v[7:8], off offset:4072
	v_lshl_add_u32 v7, v9, 2, v0
	ds_read_b32 v8, v7
	ds_read_b32 v9, v19 offset:2176
	s_waitcnt lgkmcnt(0)
	v_pk_add_f16 v10, v8, v9 neg_lo:[0,1] neg_hi:[0,1]
	v_pk_add_f16 v8, v8, v9
	v_bfi_b32 v9, s6, v10, v8
	v_bfi_b32 v8, s6, v8, v10
	v_pk_mul_f16 v9, v9, 0.5 op_sel_hi:[1,0]
	v_pk_mul_f16 v8, v8, 0.5 op_sel_hi:[1,0]
	s_waitcnt vmcnt(0)
	v_pk_fma_f16 v10, v4, v9, v8 op_sel:[1,0,0]
	v_pk_mul_f16 v11, v4, v9 op_sel_hi:[0,1]
	v_pk_fma_f16 v12, v4, v9, v8 op_sel:[1,0,0] neg_lo:[1,0,0] neg_hi:[1,0,0]
	v_pk_fma_f16 v4, v4, v9, v8 op_sel:[1,0,0] neg_lo:[0,0,1] neg_hi:[0,0,1]
	v_pk_add_f16 v8, v10, v11 op_sel:[0,1] op_sel_hi:[1,0]
	v_pk_add_f16 v9, v10, v11 op_sel:[0,1] op_sel_hi:[1,0] neg_lo:[0,1] neg_hi:[0,1]
	v_pk_add_f16 v10, v12, v11 op_sel:[0,1] op_sel_hi:[1,0] neg_lo:[0,1] neg_hi:[0,1]
	;; [unrolled: 1-line block ×3, first 2 shown]
	v_bfi_b32 v8, s6, v8, v9
	v_bfi_b32 v4, s6, v10, v4
	ds_write_b32 v7, v8
	ds_write_b32 v19, v4 offset:2176
.LBB0_28:
	s_or_b64 exec, exec, s[2:3]
	s_waitcnt lgkmcnt(0)
	s_barrier
	s_and_saveexec_b64 s[0:1], vcc
	s_cbranch_execz .LBB0_31
; %bb.29:
	v_mul_lo_u32 v4, s5, v5
	v_mul_lo_u32 v8, s4, v6
	v_mad_u64_u32 v[6:7], s[0:1], s4, v5, 0
	v_lshl_add_u32 v5, v3, 2, v0
	v_mov_b32_e32 v0, s11
	v_add3_u32 v7, v7, v8, v4
	v_lshlrev_b64 v[6:7], 2, v[6:7]
	v_mov_b32_e32 v4, 0
	v_add_co_u32_e32 v6, vcc, s10, v6
	v_addc_co_u32_e32 v7, vcc, v0, v7, vcc
	v_lshlrev_b64 v[0:1], 2, v[1:2]
	ds_read2_b32 v[8:9], v5 offset1:68
	v_add_co_u32_e32 v0, vcc, v6, v0
	v_addc_co_u32_e32 v1, vcc, v7, v1, vcc
	v_lshlrev_b64 v[6:7], 2, v[3:4]
	v_add_u32_e32 v2, 0x400, v5
	v_add_co_u32_e32 v6, vcc, v0, v6
	v_addc_co_u32_e32 v7, vcc, v1, v7, vcc
	s_waitcnt lgkmcnt(0)
	global_store_dword v[6:7], v8, off
	v_add_u32_e32 v6, 0x44, v3
	v_mov_b32_e32 v7, v4
	v_lshlrev_b64 v[6:7], 2, v[6:7]
	s_movk_i32 s0, 0x43
	v_add_co_u32_e32 v6, vcc, v0, v6
	v_addc_co_u32_e32 v7, vcc, v1, v7, vcc
	global_store_dword v[6:7], v9, off
	v_add_u32_e32 v6, 0x88, v3
	v_mov_b32_e32 v7, v4
	ds_read2_b32 v[8:9], v5 offset0:136 offset1:204
	v_lshlrev_b64 v[6:7], 2, v[6:7]
	v_add_co_u32_e32 v6, vcc, v0, v6
	v_addc_co_u32_e32 v7, vcc, v1, v7, vcc
	s_waitcnt lgkmcnt(0)
	global_store_dword v[6:7], v8, off
	v_add_u32_e32 v6, 0xcc, v3
	v_mov_b32_e32 v7, v4
	v_lshlrev_b64 v[6:7], 2, v[6:7]
	v_add_co_u32_e32 v6, vcc, v0, v6
	v_addc_co_u32_e32 v7, vcc, v1, v7, vcc
	global_store_dword v[6:7], v9, off
	v_add_u32_e32 v6, 0x110, v3
	v_mov_b32_e32 v7, v4
	ds_read2_b32 v[8:9], v2 offset0:16 offset1:84
	v_lshlrev_b64 v[6:7], 2, v[6:7]
	v_add_co_u32_e32 v6, vcc, v0, v6
	v_addc_co_u32_e32 v7, vcc, v1, v7, vcc
	s_waitcnt lgkmcnt(0)
	global_store_dword v[6:7], v8, off
	v_add_u32_e32 v6, 0x154, v3
	v_mov_b32_e32 v7, v4
	v_lshlrev_b64 v[6:7], 2, v[6:7]
	v_add_co_u32_e32 v6, vcc, v0, v6
	v_addc_co_u32_e32 v7, vcc, v1, v7, vcc
	global_store_dword v[6:7], v9, off
	v_add_u32_e32 v6, 0x198, v3
	v_mov_b32_e32 v7, v4
	ds_read2_b32 v[8:9], v2 offset0:152 offset1:220
	v_lshlrev_b64 v[6:7], 2, v[6:7]
	v_add_u32_e32 v2, 0x800, v5
	v_add_co_u32_e32 v6, vcc, v0, v6
	v_addc_co_u32_e32 v7, vcc, v1, v7, vcc
	s_waitcnt lgkmcnt(0)
	global_store_dword v[6:7], v8, off
	v_add_u32_e32 v6, 0x1dc, v3
	v_mov_b32_e32 v7, v4
	v_lshlrev_b64 v[6:7], 2, v[6:7]
	v_add_co_u32_e32 v6, vcc, v0, v6
	v_addc_co_u32_e32 v7, vcc, v1, v7, vcc
	global_store_dword v[6:7], v9, off
	v_add_u32_e32 v6, 0x220, v3
	v_mov_b32_e32 v7, v4
	ds_read2_b32 v[8:9], v2 offset0:32 offset1:100
	v_lshlrev_b64 v[6:7], 2, v[6:7]
	v_add_co_u32_e32 v6, vcc, v0, v6
	v_addc_co_u32_e32 v7, vcc, v1, v7, vcc
	s_waitcnt lgkmcnt(0)
	global_store_dword v[6:7], v8, off
	v_add_u32_e32 v6, 0x264, v3
	v_mov_b32_e32 v7, v4
	v_lshlrev_b64 v[6:7], 2, v[6:7]
	v_add_co_u32_e32 v6, vcc, v0, v6
	v_addc_co_u32_e32 v7, vcc, v1, v7, vcc
	global_store_dword v[6:7], v9, off
	v_add_u32_e32 v6, 0x2a8, v3
	v_mov_b32_e32 v7, v4
	ds_read2_b32 v[8:9], v2 offset0:168 offset1:236
	v_lshlrev_b64 v[6:7], 2, v[6:7]
	v_add_u32_e32 v2, 0xc00, v5
	v_add_co_u32_e32 v6, vcc, v0, v6
	v_addc_co_u32_e32 v7, vcc, v1, v7, vcc
	s_waitcnt lgkmcnt(0)
	global_store_dword v[6:7], v8, off
	v_add_u32_e32 v6, 0x2ec, v3
	v_mov_b32_e32 v7, v4
	v_lshlrev_b64 v[6:7], 2, v[6:7]
	v_add_co_u32_e32 v6, vcc, v0, v6
	v_addc_co_u32_e32 v7, vcc, v1, v7, vcc
	global_store_dword v[6:7], v9, off
	v_add_u32_e32 v6, 0x330, v3
	v_mov_b32_e32 v7, v4
	ds_read2_b32 v[8:9], v2 offset0:48 offset1:116
	v_lshlrev_b64 v[6:7], 2, v[6:7]
	ds_read_b32 v2, v5 offset:3808
	v_add_co_u32_e32 v6, vcc, v0, v6
	v_addc_co_u32_e32 v7, vcc, v1, v7, vcc
	s_waitcnt lgkmcnt(1)
	global_store_dword v[6:7], v8, off
	v_add_u32_e32 v6, 0x374, v3
	v_mov_b32_e32 v7, v4
	v_lshlrev_b64 v[6:7], 2, v[6:7]
	v_add_co_u32_e32 v6, vcc, v0, v6
	v_addc_co_u32_e32 v7, vcc, v1, v7, vcc
	global_store_dword v[6:7], v9, off
	v_add_u32_e32 v6, 0x3b8, v3
	v_mov_b32_e32 v7, v4
	v_lshlrev_b64 v[6:7], 2, v[6:7]
	v_add_co_u32_e32 v6, vcc, v0, v6
	v_addc_co_u32_e32 v7, vcc, v1, v7, vcc
	v_cmp_eq_u32_e32 vcc, s0, v3
	s_waitcnt lgkmcnt(0)
	global_store_dword v[6:7], v2, off
	s_and_b64 exec, exec, vcc
	s_cbranch_execz .LBB0_31
; %bb.30:
	ds_read_b32 v2, v5 offset:3812
	s_waitcnt lgkmcnt(0)
	global_store_dword v[0:1], v2, off offset:4080
.LBB0_31:
	s_endpgm
	.section	.rodata,"a",@progbits
	.p2align	6, 0x0
	.amdhsa_kernel fft_rtc_back_len1020_factors_2_17_2_3_5_wgs_204_tpt_68_halfLds_half_op_CI_CI_unitstride_sbrr_R2C_dirReg
		.amdhsa_group_segment_fixed_size 0
		.amdhsa_private_segment_fixed_size 0
		.amdhsa_kernarg_size 104
		.amdhsa_user_sgpr_count 6
		.amdhsa_user_sgpr_private_segment_buffer 1
		.amdhsa_user_sgpr_dispatch_ptr 0
		.amdhsa_user_sgpr_queue_ptr 0
		.amdhsa_user_sgpr_kernarg_segment_ptr 1
		.amdhsa_user_sgpr_dispatch_id 0
		.amdhsa_user_sgpr_flat_scratch_init 0
		.amdhsa_user_sgpr_private_segment_size 0
		.amdhsa_uses_dynamic_stack 0
		.amdhsa_system_sgpr_private_segment_wavefront_offset 0
		.amdhsa_system_sgpr_workgroup_id_x 1
		.amdhsa_system_sgpr_workgroup_id_y 0
		.amdhsa_system_sgpr_workgroup_id_z 0
		.amdhsa_system_sgpr_workgroup_info 0
		.amdhsa_system_vgpr_workitem_id 0
		.amdhsa_next_free_vgpr 210
		.amdhsa_next_free_sgpr 35
		.amdhsa_reserve_vcc 1
		.amdhsa_reserve_flat_scratch 0
		.amdhsa_float_round_mode_32 0
		.amdhsa_float_round_mode_16_64 0
		.amdhsa_float_denorm_mode_32 3
		.amdhsa_float_denorm_mode_16_64 3
		.amdhsa_dx10_clamp 1
		.amdhsa_ieee_mode 1
		.amdhsa_fp16_overflow 0
		.amdhsa_exception_fp_ieee_invalid_op 0
		.amdhsa_exception_fp_denorm_src 0
		.amdhsa_exception_fp_ieee_div_zero 0
		.amdhsa_exception_fp_ieee_overflow 0
		.amdhsa_exception_fp_ieee_underflow 0
		.amdhsa_exception_fp_ieee_inexact 0
		.amdhsa_exception_int_div_zero 0
	.end_amdhsa_kernel
	.text
.Lfunc_end0:
	.size	fft_rtc_back_len1020_factors_2_17_2_3_5_wgs_204_tpt_68_halfLds_half_op_CI_CI_unitstride_sbrr_R2C_dirReg, .Lfunc_end0-fft_rtc_back_len1020_factors_2_17_2_3_5_wgs_204_tpt_68_halfLds_half_op_CI_CI_unitstride_sbrr_R2C_dirReg
                                        ; -- End function
	.section	.AMDGPU.csdata,"",@progbits
; Kernel info:
; codeLenInByte = 15052
; NumSgprs: 39
; NumVgprs: 210
; ScratchSize: 0
; MemoryBound: 0
; FloatMode: 240
; IeeeMode: 1
; LDSByteSize: 0 bytes/workgroup (compile time only)
; SGPRBlocks: 4
; VGPRBlocks: 52
; NumSGPRsForWavesPerEU: 39
; NumVGPRsForWavesPerEU: 210
; Occupancy: 1
; WaveLimiterHint : 1
; COMPUTE_PGM_RSRC2:SCRATCH_EN: 0
; COMPUTE_PGM_RSRC2:USER_SGPR: 6
; COMPUTE_PGM_RSRC2:TRAP_HANDLER: 0
; COMPUTE_PGM_RSRC2:TGID_X_EN: 1
; COMPUTE_PGM_RSRC2:TGID_Y_EN: 0
; COMPUTE_PGM_RSRC2:TGID_Z_EN: 0
; COMPUTE_PGM_RSRC2:TIDIG_COMP_CNT: 0
	.type	__hip_cuid_7d3226706ac9230a,@object ; @__hip_cuid_7d3226706ac9230a
	.section	.bss,"aw",@nobits
	.globl	__hip_cuid_7d3226706ac9230a
__hip_cuid_7d3226706ac9230a:
	.byte	0                               ; 0x0
	.size	__hip_cuid_7d3226706ac9230a, 1

	.ident	"AMD clang version 19.0.0git (https://github.com/RadeonOpenCompute/llvm-project roc-6.4.0 25133 c7fe45cf4b819c5991fe208aaa96edf142730f1d)"
	.section	".note.GNU-stack","",@progbits
	.addrsig
	.addrsig_sym __hip_cuid_7d3226706ac9230a
	.amdgpu_metadata
---
amdhsa.kernels:
  - .args:
      - .actual_access:  read_only
        .address_space:  global
        .offset:         0
        .size:           8
        .value_kind:     global_buffer
      - .offset:         8
        .size:           8
        .value_kind:     by_value
      - .actual_access:  read_only
        .address_space:  global
        .offset:         16
        .size:           8
        .value_kind:     global_buffer
      - .actual_access:  read_only
        .address_space:  global
        .offset:         24
        .size:           8
        .value_kind:     global_buffer
      - .actual_access:  read_only
        .address_space:  global
        .offset:         32
        .size:           8
        .value_kind:     global_buffer
      - .offset:         40
        .size:           8
        .value_kind:     by_value
      - .actual_access:  read_only
        .address_space:  global
        .offset:         48
        .size:           8
        .value_kind:     global_buffer
      - .actual_access:  read_only
        .address_space:  global
        .offset:         56
        .size:           8
        .value_kind:     global_buffer
      - .offset:         64
        .size:           4
        .value_kind:     by_value
      - .actual_access:  read_only
        .address_space:  global
        .offset:         72
        .size:           8
        .value_kind:     global_buffer
      - .actual_access:  read_only
        .address_space:  global
        .offset:         80
        .size:           8
        .value_kind:     global_buffer
      - .actual_access:  read_only
        .address_space:  global
        .offset:         88
        .size:           8
        .value_kind:     global_buffer
      - .actual_access:  write_only
        .address_space:  global
        .offset:         96
        .size:           8
        .value_kind:     global_buffer
    .group_segment_fixed_size: 0
    .kernarg_segment_align: 8
    .kernarg_segment_size: 104
    .language:       OpenCL C
    .language_version:
      - 2
      - 0
    .max_flat_workgroup_size: 204
    .name:           fft_rtc_back_len1020_factors_2_17_2_3_5_wgs_204_tpt_68_halfLds_half_op_CI_CI_unitstride_sbrr_R2C_dirReg
    .private_segment_fixed_size: 0
    .sgpr_count:     39
    .sgpr_spill_count: 0
    .symbol:         fft_rtc_back_len1020_factors_2_17_2_3_5_wgs_204_tpt_68_halfLds_half_op_CI_CI_unitstride_sbrr_R2C_dirReg.kd
    .uniform_work_group_size: 1
    .uses_dynamic_stack: false
    .vgpr_count:     210
    .vgpr_spill_count: 0
    .wavefront_size: 64
amdhsa.target:   amdgcn-amd-amdhsa--gfx906
amdhsa.version:
  - 1
  - 2
...

	.end_amdgpu_metadata
